;; amdgpu-corpus repo=ROCm/rocFFT kind=compiled arch=gfx1201 opt=O3
	.text
	.amdgcn_target "amdgcn-amd-amdhsa--gfx1201"
	.amdhsa_code_object_version 6
	.protected	bluestein_single_fwd_len624_dim1_sp_op_CI_CI ; -- Begin function bluestein_single_fwd_len624_dim1_sp_op_CI_CI
	.globl	bluestein_single_fwd_len624_dim1_sp_op_CI_CI
	.p2align	8
	.type	bluestein_single_fwd_len624_dim1_sp_op_CI_CI,@function
bluestein_single_fwd_len624_dim1_sp_op_CI_CI: ; @bluestein_single_fwd_len624_dim1_sp_op_CI_CI
; %bb.0:
	s_load_b128 s[4:7], s[0:1], 0x28
	v_mul_u32_u24_e32 v1, 0x4ed, v0
	s_mov_b32 s2, exec_lo
	v_mov_b32_e32 v45, 0
	s_delay_alu instid0(VALU_DEP_2) | instskip(NEXT) | instid1(VALU_DEP_1)
	v_lshrrev_b32_e32 v1, 16, v1
	v_add_nc_u32_e32 v44, ttmp9, v1
	s_wait_kmcnt 0x0
	s_delay_alu instid0(VALU_DEP_1)
	v_cmpx_gt_u64_e64 s[4:5], v[44:45]
	s_cbranch_execz .LBB0_15
; %bb.1:
	v_mul_lo_u16 v1, v1, 52
	s_clause 0x1
	s_load_b64 s[14:15], s[0:1], 0x0
	s_load_b64 s[12:13], s[0:1], 0x38
	s_delay_alu instid0(VALU_DEP_1) | instskip(NEXT) | instid1(VALU_DEP_1)
	v_sub_nc_u16 v0, v0, v1
	v_and_b32_e32 v76, 0xffff, v0
	v_cmp_gt_u16_e32 vcc_lo, 48, v0
	s_delay_alu instid0(VALU_DEP_2)
	v_lshlrev_b32_e32 v77, 3, v76
	v_or_b32_e32 v75, 0xc0, v76
	v_or_b32_e32 v74, 0x180, v76
	;; [unrolled: 1-line block ×3, first 2 shown]
	s_and_saveexec_b32 s3, vcc_lo
	s_cbranch_execz .LBB0_3
; %bb.2:
	s_load_b64 s[4:5], s[0:1], 0x18
	s_wait_kmcnt 0x0
	s_load_b128 s[8:11], s[4:5], 0x0
	s_clause 0x1
	global_load_b64 v[10:11], v77, s[14:15]
	global_load_b64 v[12:13], v77, s[14:15] offset:384
	s_wait_kmcnt 0x0
	v_mad_co_u64_u32 v[0:1], null, s10, v44, 0
	v_mad_co_u64_u32 v[2:3], null, s8, v76, 0
	;; [unrolled: 1-line block ×5, first 2 shown]
	s_delay_alu instid0(VALU_DEP_4) | instskip(NEXT) | instid1(VALU_DEP_4)
	v_mad_co_u64_u32 v[14:15], null, s11, v44, v[1:2]
	v_mad_co_u64_u32 v[15:16], null, s9, v76, v[3:4]
	s_delay_alu instid0(VALU_DEP_4) | instskip(NEXT) | instid1(VALU_DEP_4)
	v_mad_co_u64_u32 v[16:17], null, s9, v75, v[5:6]
	v_mad_co_u64_u32 v[17:18], null, s9, v74, v[7:8]
	s_delay_alu instid0(VALU_DEP_4) | instskip(SKIP_1) | instid1(VALU_DEP_3)
	v_mov_b32_e32 v1, v14
	s_mul_u64 s[4:5], s[8:9], 0x180
	v_mov_b32_e32 v5, v16
	s_delay_alu instid0(VALU_DEP_2)
	v_lshlrev_b64_e32 v[0:1], 3, v[0:1]
	s_wait_loadcnt 0x1
	v_mad_co_u64_u32 v[18:19], null, s9, v73, v[9:10]
	s_clause 0x1
	global_load_b64 v[19:20], v77, s[14:15] offset:1536
	global_load_b64 v[21:22], v77, s[14:15] offset:3072
	v_mov_b32_e32 v7, v17
	v_mov_b32_e32 v9, v18
	v_add_co_u32 v18, s2, s6, v0
	s_mul_i32 s6, s9, 0x300
	v_mov_b32_e32 v3, v15
	v_add_co_ci_u32_e64 v25, s2, s7, v1, s2
	v_lshlrev_b64_e32 v[0:1], 3, v[4:5]
	v_lshlrev_b64_e32 v[4:5], 3, v[6:7]
	s_delay_alu instid0(VALU_DEP_4) | instskip(SKIP_1) | instid1(VALU_DEP_2)
	v_lshlrev_b64_e32 v[2:3], 3, v[2:3]
	v_lshlrev_b64_e32 v[8:9], 3, v[8:9]
	v_add_co_u32 v2, s2, v18, v2
	s_wait_alu 0xf1ff
	s_delay_alu instid0(VALU_DEP_3) | instskip(SKIP_1) | instid1(VALU_DEP_2)
	v_add_co_ci_u32_e64 v3, s2, v25, v3, s2
	s_wait_alu 0xfffe
	v_add_co_u32 v6, s2, v2, s4
	s_wait_alu 0xf1ff
	s_delay_alu instid0(VALU_DEP_2)
	v_add_co_ci_u32_e64 v7, s2, s5, v3, s2
	global_load_b64 v[2:3], v[2:3], off
	v_add_co_u32 v14, s2, v6, s4
	s_wait_alu 0xf1ff
	v_add_co_ci_u32_e64 v15, s2, s5, v7, s2
	v_add_co_u32 v0, s2, v18, v0
	s_wait_alu 0xf1ff
	v_add_co_ci_u32_e64 v1, s2, v25, v1, s2
	v_add_co_u32 v16, s2, v14, s4
	s_wait_alu 0xf1ff
	v_add_co_ci_u32_e64 v17, s2, s5, v15, s2
	v_add_co_u32 v4, s2, v18, v4
	s_wait_alu 0xf1ff
	v_add_co_ci_u32_e64 v5, s2, v25, v5, s2
	s_delay_alu instid0(VALU_DEP_3)
	v_mad_co_u64_u32 v[23:24], null, 0x300, s8, v[16:17]
	v_add_co_u32 v8, s2, v18, v8
	s_wait_alu 0xf1ff
	v_add_co_ci_u32_e64 v9, s2, v25, v9, s2
	global_load_b64 v[0:1], v[0:1], off
	global_load_b64 v[25:26], v77, s[14:15] offset:4608
	s_clause 0x1
	global_load_b64 v[4:5], v[4:5], off
	global_load_b64 v[14:15], v[14:15], off
	v_add_nc_u32_e32 v24, s6, v24
	v_add_co_u32 v27, s2, v23, s4
	s_clause 0x1
	global_load_b64 v[8:9], v[8:9], off
	global_load_b64 v[6:7], v[6:7], off
	s_wait_alu 0xf1ff
	v_add_co_ci_u32_e64 v28, s2, s5, v24, s2
	v_add_co_u32 v29, s2, v27, s4
	s_clause 0x1
	global_load_b64 v[31:32], v77, s[14:15] offset:768
	global_load_b64 v[33:34], v77, s[14:15] offset:1152
	s_wait_alu 0xf1ff
	v_add_co_ci_u32_e64 v30, s2, s5, v28, s2
	s_clause 0x1
	global_load_b64 v[16:17], v[16:17], off
	global_load_b64 v[23:24], v[23:24], off
	s_clause 0x3
	global_load_b64 v[37:38], v77, s[14:15] offset:1920
	global_load_b64 v[39:40], v77, s[14:15] offset:2304
	;; [unrolled: 1-line block ×4, first 2 shown]
	global_load_b64 v[27:28], v[27:28], off
	v_add_nc_u32_e32 v43, 0x800, v77
	v_add_nc_u32_e32 v57, 0xc00, v77
	v_mad_co_u64_u32 v[35:36], null, 0x300, s8, v[29:30]
	global_load_b64 v[29:30], v[29:30], off
	v_add_nc_u32_e32 v36, s6, v36
	v_add_co_u32 v47, s2, v35, s4
	s_wait_alu 0xf1ff
	s_delay_alu instid0(VALU_DEP_2) | instskip(NEXT) | instid1(VALU_DEP_2)
	v_add_co_ci_u32_e64 v48, s2, s5, v36, s2
	v_add_co_u32 v49, s2, v47, s4
	global_load_b64 v[35:36], v[35:36], off
	s_wait_alu 0xf1ff
	v_add_co_ci_u32_e64 v50, s2, s5, v48, s2
	global_load_b64 v[47:48], v[47:48], off
	s_clause 0x1
	global_load_b64 v[51:52], v77, s[14:15] offset:3840
	global_load_b64 v[53:54], v77, s[14:15] offset:4224
	global_load_b64 v[49:50], v[49:50], off
	s_wait_loadcnt 0x15
	v_mul_f32_e32 v55, v3, v11
	v_mul_f32_e32 v56, v2, v11
	s_delay_alu instid0(VALU_DEP_1)
	v_fma_f32 v56, v3, v10, -v56
	s_wait_loadcnt 0x14
	v_mul_f32_e32 v18, v1, v20
	v_mul_f32_e32 v58, v0, v20
	s_wait_loadcnt 0x12
	v_mul_f32_e32 v20, v5, v22
	v_mul_f32_e32 v22, v4, v22
	v_fmac_f32_e32 v18, v0, v19
	v_fma_f32 v19, v1, v19, -v58
	s_wait_loadcnt 0x10
	v_mul_f32_e32 v11, v9, v26
	v_mul_f32_e32 v26, v8, v26
	s_wait_loadcnt 0xf
	v_dual_fmac_f32 v55, v2, v10 :: v_dual_mul_f32 v2, v7, v13
	s_wait_loadcnt 0xe
	v_dual_mul_f32 v3, v6, v13 :: v_dual_mul_f32 v0, v15, v32
	v_fmac_f32_e32 v11, v8, v25
	v_dual_fmac_f32 v20, v4, v21 :: v_dual_mul_f32 v1, v14, v32
	v_fmac_f32_e32 v2, v6, v12
	s_delay_alu instid0(VALU_DEP_4)
	v_fma_f32 v3, v7, v12, -v3
	v_fmac_f32_e32 v0, v14, v31
	s_wait_loadcnt 0x6
	v_mul_f32_e32 v6, v28, v40
	v_fma_f32 v21, v5, v21, -v22
	v_mul_f32_e32 v7, v27, v40
	ds_store_2addr_b64 v77, v[55:56], v[2:3] offset1:48
	v_mul_f32_e32 v3, v16, v34
	v_mul_f32_e32 v2, v17, v34
	;; [unrolled: 1-line block ×3, first 2 shown]
	v_fma_f32 v12, v9, v25, -v26
	s_wait_loadcnt 0x5
	v_mul_f32_e32 v8, v30, v42
	v_fma_f32 v3, v17, v33, -v3
	v_fma_f32 v1, v15, v31, -v1
	v_fmac_f32_e32 v2, v16, v33
	v_fma_f32 v5, v24, v37, -v5
	v_fma_f32 v7, v28, v39, -v7
	v_mul_f32_e32 v9, v29, v42
	s_wait_loadcnt 0x4
	v_mul_f32_e32 v13, v36, v46
	s_wait_loadcnt 0x2
	v_mul_f32_e32 v15, v48, v52
	v_mul_f32_e32 v4, v24, v38
	s_wait_loadcnt 0x0
	v_dual_mul_f32 v17, v49, v54 :: v_dual_fmac_f32 v6, v27, v39
	v_fmac_f32_e32 v13, v35, v45
	v_mul_f32_e32 v10, v35, v46
	v_fmac_f32_e32 v4, v23, v37
	v_mul_f32_e32 v16, v47, v52
	v_mul_f32_e32 v22, v50, v54
	v_dual_fmac_f32 v8, v29, v41 :: v_dual_fmac_f32 v15, v47, v51
	v_fma_f32 v9, v30, v41, -v9
	v_fma_f32 v14, v36, v45, -v10
	;; [unrolled: 1-line block ×3, first 2 shown]
	v_fmac_f32_e32 v22, v49, v53
	v_fma_f32 v23, v50, v53, -v17
	ds_store_2addr_b64 v77, v[0:1], v[2:3] offset0:96 offset1:144
	ds_store_2addr_b64 v77, v[18:19], v[4:5] offset0:192 offset1:240
	;; [unrolled: 1-line block ×5, first 2 shown]
	ds_store_b64 v77, v[11:12] offset:4608
.LBB0_3:
	s_or_b32 exec_lo, exec_lo, s3
	s_load_b64 s[2:3], s[0:1], 0x20
	v_mov_b32_e32 v0, 0
	v_mov_b32_e32 v1, 0
                                        ; kill: def $vgpr2 killed $sgpr0 killed $exec
	global_wb scope:SCOPE_SE
	s_wait_dscnt 0x0
	s_wait_kmcnt 0x0
	s_barrier_signal -1
	s_barrier_wait -1
	global_inv scope:SCOPE_SE
                                        ; implicit-def: $vgpr14
                                        ; implicit-def: $vgpr6
                                        ; implicit-def: $vgpr24
                                        ; implicit-def: $vgpr10
                                        ; implicit-def: $vgpr18
                                        ; implicit-def: $vgpr22
	s_and_saveexec_b32 s4, vcc_lo
	s_cbranch_execz .LBB0_5
; %bb.4:
	v_add_nc_u32_e32 v4, 0x800, v77
	v_add_nc_u32_e32 v5, 0xc00, v77
	ds_load_2addr_b64 v[0:3], v77 offset1:48
	ds_load_2addr_b64 v[20:23], v77 offset0:96 offset1:144
	ds_load_2addr_b64 v[16:19], v77 offset0:192 offset1:240
	;; [unrolled: 1-line block ×5, first 2 shown]
	ds_load_b64 v[24:25], v77 offset:4608
.LBB0_5:
	s_wait_alu 0xfffe
	s_or_b32 exec_lo, exec_lo, s4
	s_wait_dscnt 0x0
	v_dual_sub_f32 v56, v2, v24 :: v_dual_sub_f32 v53, v21, v7
	v_dual_sub_f32 v50, v3, v25 :: v_dual_add_f32 v31, v25, v3
	s_delay_alu instid0(VALU_DEP_2) | instskip(SKIP_1) | instid1(VALU_DEP_3)
	v_dual_add_f32 v28, v24, v2 :: v_dual_mul_f32 v47, 0xbeedf032, v56
	v_dual_sub_f32 v57, v20, v6 :: v_dual_add_f32 v30, v7, v21
	v_dual_mul_f32 v40, 0xbeedf032, v50 :: v_dual_add_f32 v29, v6, v20
	s_delay_alu instid0(VALU_DEP_3) | instskip(NEXT) | instid1(VALU_DEP_3)
	v_fma_f32 v27, 0x3f62ad3f, v31, -v47
	v_dual_mul_f32 v49, 0xbf52af12, v57 :: v_dual_sub_f32 v62, v22, v4
	s_delay_alu instid0(VALU_DEP_3) | instskip(NEXT) | instid1(VALU_DEP_3)
	v_fmamk_f32 v26, v28, 0x3f62ad3f, v40
	v_dual_add_f32 v32, v4, v22 :: v_dual_add_f32 v27, v27, v1
	v_mul_f32_e32 v41, 0xbf52af12, v53
	s_delay_alu instid0(VALU_DEP_4) | instskip(NEXT) | instid1(VALU_DEP_4)
	v_fma_f32 v34, 0x3f116cb1, v30, -v49
	v_add_f32_e32 v26, v26, v0
	v_sub_f32_e32 v54, v23, v5
	v_dual_sub_f32 v58, v17, v11 :: v_dual_sub_f32 v65, v16, v10
	v_fmamk_f32 v33, v29, 0x3f116cb1, v41
	s_delay_alu instid0(VALU_DEP_3) | instskip(SKIP_1) | instid1(VALU_DEP_4)
	v_dual_add_f32 v27, v34, v27 :: v_dual_mul_f32 v42, 0xbf7e222b, v54
	v_mul_f32_e32 v52, 0xbf7e222b, v62
	v_dual_add_f32 v34, v10, v16 :: v_dual_mul_f32 v43, 0xbf6f5d39, v58
	s_delay_alu instid0(VALU_DEP_4) | instskip(NEXT) | instid1(VALU_DEP_4)
	v_dual_add_f32 v26, v33, v26 :: v_dual_add_f32 v35, v11, v17
	v_dual_add_f32 v33, v5, v23 :: v_dual_fmamk_f32 v36, v32, 0x3df6dbef, v42
	v_sub_f32_e32 v61, v19, v9
	v_dual_mul_f32 v55, 0xbf6f5d39, v65 :: v_dual_sub_f32 v66, v18, v8
	s_delay_alu instid0(VALU_DEP_3) | instskip(NEXT) | instid1(VALU_DEP_4)
	v_fma_f32 v37, 0x3df6dbef, v33, -v52
	v_add_f32_e32 v26, v36, v26
	s_load_b64 s[0:1], s[0:1], 0x8
	s_delay_alu instid0(VALU_DEP_3) | instskip(NEXT) | instid1(VALU_DEP_3)
	v_fma_f32 v38, 0xbeb58ec6, v35, -v55
	v_dual_add_f32 v36, v8, v18 :: v_dual_add_f32 v27, v37, v27
	v_fmamk_f32 v37, v34, 0xbeb58ec6, v43
	v_dual_sub_f32 v63, v13, v15 :: v_dual_sub_f32 v64, v12, v14
	v_add_f32_e32 v39, v15, v13
	s_delay_alu instid0(VALU_DEP_3) | instskip(SKIP_4) | instid1(VALU_DEP_4)
	v_dual_add_f32 v27, v38, v27 :: v_dual_add_f32 v26, v37, v26
	v_dual_add_f32 v37, v9, v19 :: v_dual_mul_f32 v48, 0xbf29c268, v61
	v_dual_mul_f32 v59, 0xbf29c268, v66 :: v_dual_add_f32 v38, v14, v12
	v_mul_f32_e32 v60, 0xbe750f2a, v64
	v_mul_lo_u16 v79, v76, 13
	v_fmamk_f32 v45, v36, 0xbf3f9e67, v48
	s_delay_alu instid0(VALU_DEP_4)
	v_fma_f32 v46, 0xbf3f9e67, v37, -v59
	v_mul_f32_e32 v51, 0xbe750f2a, v63
	global_wb scope:SCOPE_SE
	s_wait_kmcnt 0x0
	s_barrier_signal -1
	v_dual_add_f32 v26, v45, v26 :: v_dual_add_f32 v27, v46, v27
	v_fmamk_f32 v45, v38, 0xbf788fa5, v51
	v_fma_f32 v46, 0xbf788fa5, v39, -v60
	s_barrier_wait -1
	global_inv scope:SCOPE_SE
	v_dual_add_f32 v45, v45, v26 :: v_dual_add_f32 v46, v46, v27
	s_and_saveexec_b32 s4, vcc_lo
	s_cbranch_execz .LBB0_7
; %bb.6:
	v_mul_f32_e32 v83, 0xbf7e222b, v50
	v_mul_f32_e32 v91, 0xbf6f5d39, v50
	;; [unrolled: 1-line block ×5, first 2 shown]
	v_fmamk_f32 v80, v28, 0x3df6dbef, v83
	v_mul_f32_e32 v72, 0x3df6dbef, v31
	v_mul_f32_e32 v100, 0x3f116cb1, v33
	;; [unrolled: 1-line block ×4, first 2 shown]
	v_dual_mul_f32 v109, 0xbf6f5d39, v63 :: v_dual_mul_f32 v118, 0xbf6f5d39, v66
	v_fmamk_f32 v26, v56, 0x3f7e222b, v72
	v_mul_f32_e32 v71, 0xbf788fa5, v30
	v_fmamk_f32 v112, v30, 0x3f62ad3f, v108
	s_delay_alu instid0(VALU_DEP_4) | instskip(NEXT) | instid1(VALU_DEP_4)
	v_fmamk_f32 v120, v38, 0xbeb58ec6, v109
	v_dual_mul_f32 v115, 0xbf29c268, v54 :: v_dual_add_f32 v26, v26, v1
	s_delay_alu instid0(VALU_DEP_4) | instskip(SKIP_2) | instid1(VALU_DEP_2)
	v_fmamk_f32 v27, v57, 0x3e750f2a, v71
	v_dual_mul_f32 v69, 0x3f62ad3f, v35 :: v_dual_add_f32 v2, v2, v0
	v_dual_mul_f32 v116, 0x3f52af12, v65 :: v_dual_mul_f32 v117, 0x3f52af12, v58
	v_dual_add_f32 v26, v27, v26 :: v_dual_fmamk_f32 v85, v65, 0xbeedf032, v69
	v_mul_f32_e32 v81, 0xbe750f2a, v53
	v_add_f32_e32 v27, v80, v0
	v_dual_add_f32 v3, v3, v1 :: v_dual_mul_f32 v80, 0x3eedf032, v58
	v_add_f32_e32 v2, v20, v2
	s_delay_alu instid0(VALU_DEP_4) | instskip(SKIP_3) | instid1(VALU_DEP_4)
	v_fmamk_f32 v84, v29, 0xbf788fa5, v81
	v_mul_f32_e32 v70, 0xbeb58ec6, v33
	v_mul_f32_e32 v93, 0x3df6dbef, v35
	v_fmamk_f32 v87, v34, 0x3f62ad3f, v80
	v_dual_add_f32 v2, v22, v2 :: v_dual_add_f32 v27, v84, v27
	s_delay_alu instid0(VALU_DEP_4) | instskip(SKIP_1) | instid1(VALU_DEP_3)
	v_fmamk_f32 v82, v62, 0xbf6f5d39, v70
	v_mul_f32_e32 v67, 0xbf3f9e67, v39
	v_dual_mul_f32 v95, 0x3f116cb1, v39 :: v_dual_add_f32 v2, v16, v2
	v_fmamk_f32 v92, v28, 0xbeb58ec6, v91
	s_delay_alu instid0(VALU_DEP_4) | instskip(SKIP_1) | instid1(VALU_DEP_4)
	v_add_f32_e32 v26, v82, v26
	v_dual_mul_f32 v82, 0xbf52af12, v61 :: v_dual_add_f32 v3, v21, v3
	v_add_f32_e32 v97, v18, v2
	s_delay_alu instid0(VALU_DEP_3) | instskip(SKIP_1) | instid1(VALU_DEP_4)
	v_dual_add_f32 v21, v92, v0 :: v_dual_add_f32 v26, v85, v26
	v_mul_f32_e32 v85, 0xbeb58ec6, v31
	v_dual_mul_f32 v78, 0x3f6f5d39, v54 :: v_dual_add_f32 v3, v23, v3
	v_mul_f32_e32 v18, 0xbf3f9e67, v31
	v_mul_f32_e32 v20, 0x3f29c268, v53
	s_delay_alu instid0(VALU_DEP_4) | instskip(NEXT) | instid1(VALU_DEP_4)
	v_fmamk_f32 v89, v56, 0x3f6f5d39, v85
	v_fmamk_f32 v86, v32, 0xbeb58ec6, v78
	v_mul_f32_e32 v68, 0x3f116cb1, v37
	v_mul_f32_e32 v23, 0x3eedf032, v54
	v_fma_f32 v81, 0xbf788fa5, v29, -v81
	s_delay_alu instid0(VALU_DEP_4) | instskip(NEXT) | instid1(VALU_DEP_4)
	v_dual_fmamk_f32 v22, v29, 0xbf3f9e67, v20 :: v_dual_add_f32 v27, v86, v27
	v_fmamk_f32 v84, v66, 0x3f52af12, v68
	v_dual_fmamk_f32 v86, v64, 0x3f29c268, v67 :: v_dual_add_f32 v3, v17, v3
	s_delay_alu instid0(VALU_DEP_3) | instskip(NEXT) | instid1(VALU_DEP_3)
	v_add_f32_e32 v21, v22, v21
	v_dual_add_f32 v87, v87, v27 :: v_dual_add_f32 v26, v84, v26
	v_mul_f32_e32 v84, 0xbf29c268, v63
	v_fmamk_f32 v22, v32, 0x3f62ad3f, v23
	v_fmamk_f32 v88, v36, 0x3f116cb1, v82
	v_dual_add_f32 v96, v19, v3 :: v_dual_fmamk_f32 v3, v64, 0xbf52af12, v95
	v_add_f32_e32 v27, v86, v26
	v_fmamk_f32 v86, v38, 0xbf3f9e67, v84
	s_delay_alu instid0(VALU_DEP_4) | instskip(SKIP_2) | instid1(VALU_DEP_3)
	v_dual_add_f32 v21, v22, v21 :: v_dual_add_f32 v26, v88, v87
	v_add_f32_e32 v87, v89, v1
	v_dual_fmamk_f32 v88, v57, 0xbf29c268, v90 :: v_dual_mul_f32 v19, 0xbf29c268, v50
	v_dual_mul_f32 v89, 0x3f62ad3f, v33 :: v_dual_add_f32 v26, v86, v26
	s_delay_alu instid0(VALU_DEP_2) | instskip(SKIP_1) | instid1(VALU_DEP_3)
	v_dual_mul_f32 v98, 0x3f7e222b, v53 :: v_dual_add_f32 v87, v88, v87
	v_fmamk_f32 v22, v34, 0x3df6dbef, v94
	v_dual_fmamk_f32 v88, v62, 0xbeedf032, v89 :: v_dual_add_f32 v13, v13, v96
	s_delay_alu instid0(VALU_DEP_3) | instskip(SKIP_1) | instid1(VALU_DEP_3)
	v_fmamk_f32 v101, v29, 0x3df6dbef, v98
	v_fmac_f32_e32 v72, 0xbf7e222b, v56
	v_dual_add_f32 v16, v22, v21 :: v_dual_add_f32 v87, v88, v87
	v_fmamk_f32 v88, v65, 0x3f7e222b, v93
	v_mul_f32_e32 v21, 0x3df6dbef, v30
	v_fma_f32 v23, 0x3f62ad3f, v32, -v23
	v_fmac_f32_e32 v93, 0xbf7e222b, v65
	s_delay_alu instid0(VALU_DEP_4)
	v_dual_fmac_f32 v85, 0xbf6f5d39, v56 :: v_dual_add_f32 v86, v88, v87
	v_mul_f32_e32 v88, 0x3e750f2a, v61
	v_mul_f32_e32 v92, 0xbf788fa5, v37
	v_fmamk_f32 v99, v57, 0xbf7e222b, v21
	v_mul_f32_e32 v103, 0xbf788fa5, v35
	v_fmac_f32_e32 v21, 0x3f7e222b, v57
	v_fmamk_f32 v17, v36, 0xbf788fa5, v88
	v_fmamk_f32 v87, v66, 0xbe750f2a, v92
	v_fma_f32 v91, 0xbeb58ec6, v28, -v91
	v_dual_fmac_f32 v92, 0x3e750f2a, v66 :: v_dual_add_f32 v85, v85, v1
	s_delay_alu instid0(VALU_DEP_4) | instskip(NEXT) | instid1(VALU_DEP_4)
	v_add_f32_e32 v16, v17, v16
	v_dual_add_f32 v2, v87, v86 :: v_dual_fmamk_f32 v17, v56, 0x3f29c268, v18
	v_fmamk_f32 v87, v28, 0xbf3f9e67, v19
	v_fma_f32 v19, 0xbf3f9e67, v28, -v19
	v_add_f32_e32 v91, v91, v0
	s_delay_alu instid0(VALU_DEP_4)
	v_add_f32_e32 v3, v3, v2
	v_add_f32_e32 v17, v17, v1
	v_add_f32_e32 v87, v87, v0
	v_fma_f32 v98, 0x3df6dbef, v29, -v98
	v_fma_f32 v20, 0xbf3f9e67, v29, -v20
	v_dual_fmac_f32 v89, 0x3eedf032, v62 :: v_dual_add_f32 v72, v72, v1
	v_add_f32_e32 v17, v99, v17
	v_add_f32_e32 v87, v101, v87
	v_fmamk_f32 v101, v32, 0x3f116cb1, v102
	v_dual_mul_f32 v22, 0x3f52af12, v63 :: v_dual_fmamk_f32 v99, v62, 0x3f52af12, v100
	v_dual_add_f32 v19, v19, v0 :: v_dual_fmac_f32 v100, 0xbf52af12, v62
	s_delay_alu instid0(VALU_DEP_2) | instskip(NEXT) | instid1(VALU_DEP_3)
	v_dual_add_f32 v87, v101, v87 :: v_dual_fmamk_f32 v86, v38, 0x3f116cb1, v22
	v_add_f32_e32 v17, v99, v17
	v_fmamk_f32 v99, v65, 0xbe750f2a, v103
	v_mul_f32_e32 v104, 0x3e750f2a, v58
	v_dual_mul_f32 v113, 0xbf29c268, v62 :: v_dual_fmac_f32 v18, 0xbf29c268, v56
	s_delay_alu instid0(VALU_DEP_3) | instskip(SKIP_1) | instid1(VALU_DEP_4)
	v_dual_add_f32 v2, v86, v16 :: v_dual_add_f32 v17, v99, v17
	v_fmamk_f32 v99, v66, 0xbeedf032, v105
	v_fmamk_f32 v101, v34, 0xbf788fa5, v104
	v_dual_mul_f32 v111, 0x3eedf032, v53 :: v_dual_add_f32 v98, v98, v19
	v_add_f32_e32 v18, v18, v1
	s_delay_alu instid0(VALU_DEP_4) | instskip(NEXT) | instid1(VALU_DEP_4)
	v_dual_add_f32 v16, v99, v17 :: v_dual_mul_f32 v99, 0xbe750f2a, v50
	v_dual_add_f32 v87, v101, v87 :: v_dual_mul_f32 v106, 0x3eedf032, v61
	s_delay_alu instid0(VALU_DEP_4) | instskip(NEXT) | instid1(VALU_DEP_4)
	v_fma_f32 v114, 0x3f62ad3f, v29, -v111
	v_add_f32_e32 v18, v21, v18
	s_delay_alu instid0(VALU_DEP_4) | instskip(SKIP_2) | instid1(VALU_DEP_4)
	v_fma_f32 v110, 0xbf788fa5, v28, -v99
	v_mul_f32_e32 v119, 0xbf6f5d39, v61
	v_dual_fmac_f32 v103, 0x3e750f2a, v65 :: v_dual_add_f32 v20, v20, v91
	v_add_f32_e32 v100, v100, v18
	s_delay_alu instid0(VALU_DEP_4) | instskip(SKIP_1) | instid1(VALU_DEP_4)
	v_dual_add_f32 v110, v110, v0 :: v_dual_fmamk_f32 v101, v36, 0x3f62ad3f, v106
	v_fma_f32 v102, 0x3f116cb1, v32, -v102
	v_dual_fmac_f32 v105, 0x3eedf032, v66 :: v_dual_add_f32 v20, v23, v20
	s_delay_alu instid0(VALU_DEP_3)
	v_add_f32_e32 v110, v114, v110
	v_fma_f32 v114, 0xbf3f9e67, v32, -v115
	v_mul_f32_e32 v107, 0xbe750f2a, v56
	v_add_f32_e32 v87, v101, v87
	v_fma_f32 v23, 0x3df6dbef, v34, -v94
	v_fma_f32 v22, 0x3f116cb1, v38, -v22
	s_delay_alu instid0(VALU_DEP_4)
	v_dual_add_f32 v110, v114, v110 :: v_dual_fmamk_f32 v101, v31, 0xbf788fa5, v107
	v_mul_f32_e32 v86, 0xbeb58ec6, v39
	v_fma_f32 v114, 0x3f116cb1, v34, -v117
	v_fmac_f32_e32 v71, 0xbe750f2a, v57
	v_fma_f32 v88, 0xbf788fa5, v36, -v88
	v_add_f32_e32 v101, v101, v1
	s_delay_alu instid0(VALU_DEP_4) | instskip(SKIP_2) | instid1(VALU_DEP_4)
	v_dual_fmamk_f32 v17, v64, 0x3f6f5d39, v86 :: v_dual_add_f32 v110, v114, v110
	v_fma_f32 v114, 0xbeb58ec6, v36, -v119
	v_dual_add_f32 v71, v71, v72 :: v_dual_fmac_f32 v68, 0xbf52af12, v66
	v_dual_add_f32 v101, v112, v101 :: v_dual_fmamk_f32 v112, v33, 0xbf3f9e67, v113
	s_delay_alu instid0(VALU_DEP_4) | instskip(SKIP_2) | instid1(VALU_DEP_4)
	v_dual_add_f32 v17, v17, v16 :: v_dual_fmac_f32 v90, 0x3f29c268, v57
	v_add_f32_e32 v23, v23, v20
	v_fmac_f32_e32 v99, 0xbf788fa5, v28
	v_dual_add_f32 v101, v112, v101 :: v_dual_fmamk_f32 v112, v35, 0x3f116cb1, v116
	v_fmac_f32_e32 v86, 0xbf6f5d39, v64
	v_fmac_f32_e32 v111, 0x3f62ad3f, v29
	;; [unrolled: 1-line block ×4, first 2 shown]
	v_dual_add_f32 v101, v112, v101 :: v_dual_fmamk_f32 v112, v37, 0xbeb58ec6, v118
	v_add_f32_e32 v16, v120, v87
	v_fmac_f32_e32 v70, 0x3f6f5d39, v62
	v_mul_f32_e32 v62, 0xbe750f2a, v62
	s_delay_alu instid0(VALU_DEP_4) | instskip(SKIP_1) | instid1(VALU_DEP_4)
	v_dual_mul_f32 v58, 0x3f29c268, v58 :: v_dual_add_f32 v87, v112, v101
	v_dual_add_f32 v101, v114, v110 :: v_dual_mul_f32 v110, 0x3f7e222b, v64
	v_add_f32_e32 v70, v70, v71
	v_mul_f32_e32 v112, 0x3f7e222b, v63
	s_delay_alu instid0(VALU_DEP_3) | instskip(NEXT) | instid1(VALU_DEP_2)
	v_fmamk_f32 v21, v39, 0x3df6dbef, v110
	v_fma_f32 v114, 0x3df6dbef, v38, -v112
	s_delay_alu instid0(VALU_DEP_2) | instskip(SKIP_4) | instid1(VALU_DEP_3)
	v_dual_fmac_f32 v112, 0x3df6dbef, v38 :: v_dual_add_f32 v19, v21, v87
	v_add_f32_e32 v21, v102, v98
	v_fma_f32 v87, 0xbf788fa5, v34, -v104
	v_add_f32_e32 v98, v103, v100
	v_dual_add_f32 v18, v114, v101 :: v_dual_fmac_f32 v115, 0xbf3f9e67, v32
	v_add_f32_e32 v21, v87, v21
	v_fma_f32 v87, 0x3f62ad3f, v36, -v106
	s_delay_alu instid0(VALU_DEP_1) | instskip(SKIP_2) | instid1(VALU_DEP_1)
	v_dual_add_f32 v98, v105, v98 :: v_dual_add_f32 v87, v87, v21
	v_add_f32_e32 v21, v90, v85
	v_fma_f32 v85, 0xbeb58ec6, v38, -v109
	v_add_f32_e32 v20, v85, v87
	s_delay_alu instid0(VALU_DEP_3) | instskip(NEXT) | instid1(VALU_DEP_1)
	v_add_f32_e32 v89, v89, v21
	v_dual_add_f32 v21, v86, v98 :: v_dual_add_f32 v86, v93, v89
	s_delay_alu instid0(VALU_DEP_1) | instskip(SKIP_2) | instid1(VALU_DEP_2)
	v_add_f32_e32 v85, v92, v86
	v_add_f32_e32 v86, v88, v23
	v_fma_f32 v23, 0x3df6dbef, v28, -v83
	v_add_f32_e32 v22, v22, v86
	s_delay_alu instid0(VALU_DEP_2) | instskip(NEXT) | instid1(VALU_DEP_1)
	v_add_f32_e32 v72, v23, v0
	v_add_f32_e32 v71, v81, v72
	v_fma_f32 v72, 0xbeb58ec6, v32, -v78
	v_fmac_f32_e32 v95, 0x3f52af12, v64
	v_mul_f32_e32 v78, 0xbf52af12, v56
	s_delay_alu instid0(VALU_DEP_3) | instskip(SKIP_4) | instid1(VALU_DEP_4)
	v_add_f32_e32 v56, v72, v71
	v_fma_f32 v72, 0x3f62ad3f, v34, -v80
	v_fmac_f32_e32 v69, 0x3eedf032, v65
	v_mul_f32_e32 v80, 0xbf6f5d39, v57
	v_add_f32_e32 v23, v95, v85
	v_dual_mul_f32 v65, 0x3f29c268, v65 :: v_dual_add_f32 v56, v72, v56
	s_delay_alu instid0(VALU_DEP_4) | instskip(SKIP_3) | instid1(VALU_DEP_4)
	v_add_f32_e32 v69, v69, v70
	v_fma_f32 v72, 0x3f116cb1, v36, -v82
	v_dual_mul_f32 v71, 0x3f62ad3f, v31 :: v_dual_mul_f32 v70, 0x3f62ad3f, v28
	v_mul_f32_e32 v82, 0xbeb58ec6, v34
	v_add_f32_e32 v68, v68, v69
	s_delay_alu instid0(VALU_DEP_4) | instskip(SKIP_4) | instid1(VALU_DEP_4)
	v_dual_add_f32 v56, v72, v56 :: v_dual_fmamk_f32 v81, v30, 0xbeb58ec6, v80
	v_fmac_f32_e32 v67, 0xbf29c268, v64
	v_dual_mul_f32 v54, 0xbe750f2a, v54 :: v_dual_add_f32 v47, v47, v71
	v_sub_f32_e32 v40, v70, v40
	v_mul_f32_e32 v64, 0x3eedf032, v64
	v_dual_add_f32 v57, v67, v68 :: v_dual_fmamk_f32 v68, v33, 0xbf788fa5, v62
	v_fmamk_f32 v69, v31, 0x3f116cb1, v78
	v_mul_f32_e32 v67, 0xbf52af12, v50
	v_dual_add_f32 v47, v47, v1 :: v_dual_add_f32 v40, v40, v0
	s_delay_alu instid0(VALU_DEP_3) | instskip(NEXT) | instid1(VALU_DEP_3)
	v_dual_mul_f32 v70, 0xbf788fa5, v39 :: v_dual_add_f32 v69, v69, v1
	v_fma_f32 v72, 0x3f116cb1, v28, -v67
	s_delay_alu instid0(VALU_DEP_2) | instskip(SKIP_1) | instid1(VALU_DEP_2)
	v_add_f32_e32 v50, v81, v69
	v_fma_f32 v69, 0xbf3f9e67, v38, -v84
	v_add_f32_e32 v50, v68, v50
	v_fmamk_f32 v68, v35, 0xbf3f9e67, v65
	s_delay_alu instid0(VALU_DEP_3) | instskip(SKIP_1) | instid1(VALU_DEP_3)
	v_add_f32_e32 v56, v69, v56
	v_add_f32_e32 v69, v72, v0
	;; [unrolled: 1-line block ×3, first 2 shown]
	v_mul_f32_e32 v68, 0x3f116cb1, v30
	s_delay_alu instid0(VALU_DEP_1) | instskip(NEXT) | instid1(VALU_DEP_1)
	v_dual_mul_f32 v66, 0x3f7e222b, v66 :: v_dual_add_f32 v49, v49, v68
	v_fmamk_f32 v71, v37, 0x3df6dbef, v66
	v_mul_f32_e32 v53, 0xbf6f5d39, v53
	v_fma_f32 v68, 0xbf788fa5, v32, -v54
	s_delay_alu instid0(VALU_DEP_4) | instskip(NEXT) | instid1(VALU_DEP_4)
	v_dual_fmac_f32 v54, 0xbf788fa5, v32 :: v_dual_add_f32 v47, v49, v47
	v_add_f32_e32 v50, v71, v50
	s_delay_alu instid0(VALU_DEP_4)
	v_fma_f32 v72, 0xbeb58ec6, v29, -v53
	v_mul_f32_e32 v71, 0x3df6dbef, v33
	v_fmac_f32_e32 v53, 0xbeb58ec6, v29
	v_add_f32_e32 v13, v15, v13
	v_add_f32_e32 v15, v12, v97
	v_dual_add_f32 v69, v72, v69 :: v_dual_mul_f32 v72, 0x3df6dbef, v32
	v_dual_add_f32 v49, v52, v71 :: v_dual_mul_f32 v52, 0x3f7e222b, v61
	s_delay_alu instid0(VALU_DEP_2) | instskip(SKIP_2) | instid1(VALU_DEP_4)
	v_dual_mul_f32 v61, 0xbeb58ec6, v35 :: v_dual_add_f32 v68, v68, v69
	v_fma_f32 v69, 0xbf3f9e67, v34, -v58
	v_mul_f32_e32 v81, 0x3f116cb1, v29
	v_add_f32_e32 v47, v49, v47
	s_delay_alu instid0(VALU_DEP_4)
	v_add_f32_e32 v55, v55, v61
	v_add_f32_e32 v9, v9, v13
	;; [unrolled: 1-line block ×3, first 2 shown]
	v_sub_f32_e32 v41, v81, v41
	v_dual_add_f32 v13, v14, v15 :: v_dual_fmac_f32 v58, 0xbf3f9e67, v34
	v_fma_f32 v14, 0xbf788fa5, v31, -v107
	v_fma_f32 v49, 0x3df6dbef, v36, -v52
	s_delay_alu instid0(VALU_DEP_4)
	v_dual_mul_f32 v61, 0x3eedf032, v63 :: v_dual_add_f32 v40, v41, v40
	v_mul_f32_e32 v63, 0xbf3f9e67, v37
	v_dual_add_f32 v47, v55, v47 :: v_dual_add_f32 v8, v8, v13
	v_add_f32_e32 v9, v11, v9
	v_dual_add_f32 v11, v14, v1 :: v_dual_fmac_f32 v52, 0x3df6dbef, v36
	v_fma_f32 v13, 0x3f62ad3f, v30, -v108
	v_fmac_f32_e32 v67, 0x3f116cb1, v28
	v_sub_f32_e32 v41, v72, v42
	v_dual_add_f32 v49, v49, v68 :: v_dual_fmamk_f32 v68, v39, 0x3f62ad3f, v64
	v_fma_f32 v55, 0x3f62ad3f, v38, -v61
	v_add_f32_e32 v5, v5, v9
	s_delay_alu instid0(VALU_DEP_4) | instskip(SKIP_4) | instid1(VALU_DEP_4)
	v_dual_add_f32 v15, v41, v40 :: v_dual_sub_f32 v40, v82, v43
	v_dual_add_f32 v59, v59, v63 :: v_dual_add_f32 v8, v10, v8
	v_add_f32_e32 v9, v13, v11
	v_fma_f32 v10, 0xbf3f9e67, v33, -v113
	v_add_f32_e32 v49, v55, v49
	v_dual_add_f32 v5, v7, v5 :: v_dual_add_f32 v4, v4, v8
	v_fma_f32 v8, 0x3f116cb1, v35, -v116
	v_fmac_f32_e32 v61, 0x3f62ad3f, v38
	v_add_f32_e32 v7, v10, v9
	s_delay_alu instid0(VALU_DEP_4) | instskip(SKIP_2) | instid1(VALU_DEP_4)
	v_dual_add_f32 v55, v60, v70 :: v_dual_add_f32 v4, v6, v4
	v_fma_f32 v9, 0x3f116cb1, v31, -v78
	v_add_f32_e32 v47, v59, v47
	v_add_f32_e32 v6, v8, v7
	v_fma_f32 v7, 0xbeb58ec6, v37, -v118
	v_add_f32_e32 v4, v24, v4
	v_dual_add_f32 v8, v99, v0 :: v_dual_add_f32 v1, v9, v1
	v_add_f32_e32 v0, v67, v0
	s_delay_alu instid0(VALU_DEP_4) | instskip(SKIP_1) | instid1(VALU_DEP_4)
	v_dual_add_f32 v6, v7, v6 :: v_dual_mul_f32 v69, 0xbf3f9e67, v36
	v_add_f32_e32 v12, v55, v47
	v_add_f32_e32 v7, v111, v8
	v_fma_f32 v8, 0xbeb58ec6, v30, -v80
	v_dual_add_f32 v0, v53, v0 :: v_dual_mul_f32 v63, 0xbf788fa5, v38
	v_add_f32_e32 v14, v40, v15
	s_delay_alu instid0(VALU_DEP_4) | instskip(NEXT) | instid1(VALU_DEP_4)
	v_add_f32_e32 v7, v115, v7
	v_add_f32_e32 v1, v8, v1
	v_fma_f32 v8, 0xbf788fa5, v33, -v62
	v_dual_sub_f32 v15, v69, v48 :: v_dual_and_b32 v10, 0xffff, v79
	s_delay_alu instid0(VALU_DEP_4) | instskip(NEXT) | instid1(VALU_DEP_3)
	v_dual_add_f32 v7, v117, v7 :: v_dual_add_f32 v0, v54, v0
	v_add_f32_e32 v1, v8, v1
	v_fma_f32 v8, 0xbf3f9e67, v35, -v65
	s_delay_alu instid0(VALU_DEP_4) | instskip(NEXT) | instid1(VALU_DEP_4)
	v_dual_sub_f32 v13, v63, v51 :: v_dual_lshlrev_b32 v10, 3, v10
	v_dual_add_f32 v7, v119, v7 :: v_dual_add_f32 v0, v58, v0
	v_add_f32_e32 v11, v15, v14
	s_delay_alu instid0(VALU_DEP_4) | instskip(SKIP_2) | instid1(VALU_DEP_4)
	v_add_f32_e32 v1, v8, v1
	v_fma_f32 v8, 0x3df6dbef, v37, -v66
	v_fma_f32 v9, 0x3df6dbef, v39, -v110
	v_dual_add_f32 v14, v52, v0 :: v_dual_add_f32 v11, v13, v11
	v_fma_f32 v13, 0x3f62ad3f, v39, -v64
	s_delay_alu instid0(VALU_DEP_4) | instskip(SKIP_3) | instid1(VALU_DEP_4)
	v_add_f32_e32 v8, v8, v1
	v_dual_add_f32 v0, v112, v7 :: v_dual_add_f32 v5, v25, v5
	v_add_f32_e32 v50, v68, v50
	v_add_f32_e32 v1, v9, v6
	;; [unrolled: 1-line block ×4, first 2 shown]
	ds_store_2addr_b64 v10, v[4:5], v[11:12] offset1:1
	ds_store_2addr_b64 v10, v[49:50], v[56:57] offset0:2 offset1:3
	ds_store_2addr_b64 v10, v[22:23], v[20:21] offset0:4 offset1:5
	;; [unrolled: 1-line block ×5, first 2 shown]
	ds_store_b64 v10, v[45:46] offset:96
.LBB0_7:
	s_wait_alu 0xfffe
	s_or_b32 exec_lo, exec_lo, s4
	v_and_b32_e32 v0, 0xff, v76
	v_add_nc_u16 v2, v76, 52
	v_add_nc_u16 v3, v76, 0x68
	s_load_b128 s[4:7], s[2:3], 0x0
	global_wb scope:SCOPE_SE
	s_wait_dscnt 0x0
	v_mul_lo_u16 v0, 0x4f, v0
	s_wait_kmcnt 0x0
	s_barrier_signal -1
	s_barrier_wait -1
	global_inv scope:SCOPE_SE
	v_mad_co_u64_u32 v[40:41], null, v76, 40, s[0:1]
	v_lshrrev_b16 v28, 10, v0
	v_and_b32_e32 v0, 0xff, v2
	s_delay_alu instid0(VALU_DEP_2) | instskip(NEXT) | instid1(VALU_DEP_2)
	v_mul_lo_u16 v1, v28, 13
	v_mul_lo_u16 v0, 0x4f, v0
	s_delay_alu instid0(VALU_DEP_2) | instskip(NEXT) | instid1(VALU_DEP_2)
	v_sub_nc_u16 v1, v76, v1
	v_lshrrev_b16 v29, 10, v0
	s_delay_alu instid0(VALU_DEP_2) | instskip(NEXT) | instid1(VALU_DEP_1)
	v_and_b32_e32 v36, 0xff, v1
	v_mad_co_u64_u32 v[0:1], null, v36, 24, s[0:1]
	s_clause 0x1
	global_load_b128 v[8:11], v[0:1], off
	global_load_b64 v[51:52], v[0:1], off offset:16
	v_and_b32_e32 v4, 0xff, v3
	s_delay_alu instid0(VALU_DEP_1) | instskip(NEXT) | instid1(VALU_DEP_1)
	v_mul_lo_u16 v4, 0x4f, v4
	v_lshrrev_b16 v30, 10, v4
	v_mul_lo_u16 v4, v29, 13
	s_delay_alu instid0(VALU_DEP_2) | instskip(NEXT) | instid1(VALU_DEP_2)
	v_mul_lo_u16 v5, v30, 13
	v_sub_nc_u16 v2, v2, v4
	s_delay_alu instid0(VALU_DEP_2) | instskip(NEXT) | instid1(VALU_DEP_2)
	v_sub_nc_u16 v3, v3, v5
	v_and_b32_e32 v37, 0xff, v2
	s_delay_alu instid0(VALU_DEP_2) | instskip(NEXT) | instid1(VALU_DEP_2)
	v_and_b32_e32 v38, 0xff, v3
	v_mad_co_u64_u32 v[0:1], null, v37, 24, s[0:1]
	s_delay_alu instid0(VALU_DEP_2)
	v_mad_co_u64_u32 v[12:13], null, v38, 24, s[0:1]
	s_clause 0x3
	global_load_b128 v[4:7], v[0:1], off
	global_load_b64 v[49:50], v[0:1], off offset:16
	global_load_b128 v[0:3], v[12:13], off
	global_load_b64 v[47:48], v[12:13], off offset:16
	v_and_b32_e32 v12, 0xffff, v76
	v_and_b32_e32 v30, 0xffff, v30
	s_delay_alu instid0(VALU_DEP_2) | instskip(NEXT) | instid1(VALU_DEP_2)
	v_lshlrev_b32_e32 v78, 3, v12
	v_mul_u32_u24_e32 v43, 52, v30
	s_delay_alu instid0(VALU_DEP_2)
	v_add_nc_u32_e32 v67, 0x800, v78
	ds_load_2addr_b64 v[12:15], v78 offset1:52
	ds_load_2addr_b64 v[16:19], v78 offset0:104 offset1:156
	ds_load_2addr_b64 v[20:23], v67 offset0:56 offset1:108
	;; [unrolled: 1-line block ×3, first 2 shown]
	v_and_b32_e32 v28, 0xffff, v28
	v_and_b32_e32 v29, 0xffff, v29
	v_add_nc_u32_e32 v68, 0x400, v78
	v_add_nc_u32_e32 v69, 0x1000, v78
	s_delay_alu instid0(VALU_DEP_4) | instskip(NEXT) | instid1(VALU_DEP_4)
	v_mul_u32_u24_e32 v39, 52, v28
	v_mul_u32_u24_e32 v42, 52, v29
	s_delay_alu instid0(VALU_DEP_1) | instskip(SKIP_2) | instid1(VALU_DEP_1)
	v_add_lshl_u32 v82, v42, v37, 3
	s_wait_loadcnt_dscnt 0x400
	v_dual_mul_f32 v37, v18, v9 :: v_dual_mul_f32 v42, v27, v52
	v_fmac_f32_e32 v37, v19, v8
	v_add_lshl_u32 v83, v39, v36, 3
	v_dual_mul_f32 v39, v20, v11 :: v_dual_mul_f32 v36, v19, v9
	s_delay_alu instid0(VALU_DEP_1) | instskip(SKIP_2) | instid1(VALU_DEP_4)
	v_fmac_f32_e32 v39, v21, v10
	v_add_lshl_u32 v81, v43, v38, 3
	v_dual_mul_f32 v38, v21, v11 :: v_dual_mul_f32 v43, v26, v52
	v_fma_f32 v18, v18, v8, -v36
	s_delay_alu instid0(VALU_DEP_2) | instskip(NEXT) | instid1(VALU_DEP_3)
	v_fma_f32 v19, v20, v10, -v38
	v_fmac_f32_e32 v43, v27, v51
	v_fma_f32 v20, v26, v51, -v42
	s_wait_loadcnt 0x3
	v_mul_f32_e32 v27, v23, v7
	s_wait_loadcnt 0x1
	v_mul_f32_e32 v55, v25, v3
	ds_load_2addr_b64 v[28:31], v68 offset0:80 offset1:132
	ds_load_2addr_b64 v[32:35], v69 offset0:8 offset1:60
	v_mul_f32_e32 v36, v22, v7
	v_mul_f32_e32 v56, v24, v3
	global_wb scope:SCOPE_SE
	s_wait_loadcnt_dscnt 0x0
	v_fma_f32 v24, v24, v2, -v55
	s_barrier_signal -1
	s_barrier_wait -1
	global_inv scope:SCOPE_SE
	v_mul_f32_e32 v21, v29, v5
	v_mul_f32_e32 v38, v33, v50
	;; [unrolled: 1-line block ×3, first 2 shown]
	v_dual_mul_f32 v42, v32, v50 :: v_dual_mul_f32 v53, v31, v1
	s_delay_alu instid0(VALU_DEP_4)
	v_fma_f32 v28, v28, v4, -v21
	v_fma_f32 v21, v22, v6, -v27
	v_sub_f32_e32 v27, v12, v19
	v_fma_f32 v22, v32, v49, -v38
	v_fmac_f32_e32 v26, v29, v4
	v_sub_f32_e32 v29, v13, v39
	v_sub_f32_e32 v19, v18, v20
	v_mul_f32_e32 v54, v30, v1
	v_sub_f32_e32 v22, v28, v22
	v_dual_sub_f32 v20, v37, v43 :: v_dual_mul_f32 v57, v35, v48
	s_delay_alu instid0(VALU_DEP_4) | instskip(NEXT) | instid1(VALU_DEP_4)
	v_fma_f32 v18, v18, 2.0, -v19
	v_fmac_f32_e32 v54, v31, v0
	v_fma_f32 v31, v13, 2.0, -v29
	s_delay_alu instid0(VALU_DEP_4) | instskip(SKIP_3) | instid1(VALU_DEP_4)
	v_fma_f32 v32, v37, 2.0, -v20
	v_fmac_f32_e32 v56, v25, v2
	v_fma_f32 v25, v34, v47, -v57
	v_add_f32_e32 v13, v29, v19
	v_sub_f32_e32 v19, v31, v32
	s_delay_alu instid0(VALU_DEP_4) | instskip(SKIP_2) | instid1(VALU_DEP_3)
	v_dual_fmac_f32 v36, v23, v6 :: v_dual_sub_f32 v37, v17, v56
	v_fma_f32 v23, v30, v0, -v53
	v_fma_f32 v30, v12, 2.0, -v27
	v_fma_f32 v39, v17, 2.0, -v37
	v_mul_f32_e32 v58, v34, v48
	v_sub_f32_e32 v34, v15, v36
	v_sub_f32_e32 v36, v16, v24
	;; [unrolled: 1-line block ×4, first 2 shown]
	v_fmac_f32_e32 v58, v35, v47
	v_fma_f32 v38, v15, 2.0, -v34
	v_add_f32_e32 v15, v34, v22
	v_add_f32_e32 v17, v37, v24
	s_delay_alu instid0(VALU_DEP_4) | instskip(SKIP_2) | instid1(VALU_DEP_3)
	v_dual_fmac_f32 v42, v33, v49 :: v_dual_sub_f32 v25, v54, v58
	v_sub_f32_e32 v33, v14, v21
	v_fma_f32 v21, v29, 2.0, -v13
	v_sub_f32_e32 v35, v26, v42
	s_delay_alu instid0(VALU_DEP_4) | instskip(NEXT) | instid1(VALU_DEP_4)
	v_fma_f32 v29, v54, 2.0, -v25
	v_fma_f32 v32, v14, 2.0, -v33
	s_delay_alu instid0(VALU_DEP_3) | instskip(SKIP_3) | instid1(VALU_DEP_4)
	v_fma_f32 v26, v26, 2.0, -v35
	v_sub_f32_e32 v12, v27, v20
	v_sub_f32_e32 v14, v33, v35
	v_fma_f32 v35, v16, 2.0, -v36
	v_dual_sub_f32 v16, v36, v25 :: v_dual_sub_f32 v25, v38, v26
	s_delay_alu instid0(VALU_DEP_4)
	v_fma_f32 v20, v27, 2.0, -v12
	v_fma_f32 v27, v28, 2.0, -v22
	;; [unrolled: 1-line block ×3, first 2 shown]
	v_sub_f32_e32 v29, v39, v29
	v_fma_f32 v22, v30, 2.0, -v18
	v_fma_f32 v23, v31, 2.0, -v19
	v_sub_f32_e32 v24, v32, v27
	v_sub_f32_e32 v28, v35, v28
	v_fma_f32 v26, v33, 2.0, -v14
	v_fma_f32 v27, v34, 2.0, -v15
	;; [unrolled: 1-line block ×8, first 2 shown]
	ds_store_2addr_b64 v83, v[18:19], v[12:13] offset0:26 offset1:39
	ds_store_2addr_b64 v83, v[22:23], v[20:21] offset1:13
	ds_store_2addr_b64 v82, v[24:25], v[14:15] offset0:26 offset1:39
	ds_store_2addr_b64 v82, v[32:33], v[26:27] offset1:13
	ds_store_2addr_b64 v81, v[34:35], v[30:31] offset1:13
	ds_store_2addr_b64 v81, v[28:29], v[16:17] offset0:26 offset1:39
	global_wb scope:SCOPE_SE
	s_wait_dscnt 0x0
	s_barrier_signal -1
	s_barrier_wait -1
	global_inv scope:SCOPE_SE
	s_clause 0x2
	global_load_b128 v[16:19], v[40:41], off offset:312
	global_load_b128 v[12:15], v[40:41], off offset:328
	global_load_b64 v[53:54], v[40:41], off offset:344
	ds_load_2addr_b64 v[20:23], v78 offset0:104 offset1:156
	ds_load_2addr_b64 v[24:27], v68 offset0:80 offset1:132
	;; [unrolled: 1-line block ×5, first 2 shown]
	s_wait_loadcnt_dscnt 0x204
	v_dual_mul_f32 v55, v21, v17 :: v_dual_lshlrev_b32 v42, 5, v76
	s_wait_dscnt 0x3
	v_mul_f32_e32 v57, v25, v19
	s_wait_loadcnt_dscnt 0x0
	v_mul_f32_e32 v89, v38, v54
	v_sub_co_u32 v59, s0, v40, v42
	s_wait_alu 0xf1ff
	v_subrev_co_ci_u32_e64 v60, s0, 0, v41, s0
	ds_load_2addr_b64 v[40:43], v78 offset1:52
	v_dual_mul_f32 v61, v29, v13 :: v_dual_mul_f32 v64, v32, v15
	v_fmac_f32_e32 v89, v39, v53
	v_mul_f32_e32 v65, v37, v54
	v_mul_f32_e32 v85, v30, v13
	v_dual_mul_f32 v56, v20, v17 :: v_dual_mul_f32 v87, v34, v15
	v_mul_f32_e32 v58, v24, v19
	v_mul_f32_e32 v63, v33, v15
	v_fma_f32 v55, v20, v16, -v55
	v_fma_f32 v20, v24, v18, -v57
	v_fmac_f32_e32 v87, v35, v14
	v_mul_f32_e32 v70, v23, v17
	v_fmac_f32_e32 v58, v25, v18
	v_fmac_f32_e32 v64, v33, v14
	v_mul_f32_e32 v62, v28, v13
	v_fma_f32 v25, v36, v53, -v65
	v_fmac_f32_e32 v85, v31, v12
	v_fmac_f32_e32 v56, v21, v16
	v_fma_f32 v21, v28, v12, -v61
	v_mul_f32_e32 v72, v27, v19
	v_mul_f32_e32 v86, v35, v15
	v_dual_mul_f32 v66, v36, v54 :: v_dual_add_f32 v33, v58, v64
	v_mul_f32_e32 v71, v22, v17
	v_mul_f32_e32 v84, v31, v13
	v_fma_f32 v24, v32, v14, -v63
	v_sub_f32_e32 v31, v58, v64
	v_fmac_f32_e32 v62, v29, v12
	s_wait_dscnt 0x0
	v_dual_mul_f32 v80, v26, v19 :: v_dual_add_f32 v29, v40, v20
	v_mul_f32_e32 v88, v39, v54
	v_fma_f32 v28, v22, v16, -v70
	v_add_f32_e32 v35, v21, v25
	v_fma_f32 v22, v26, v18, -v72
	v_fma_f32 v26, v34, v14, -v86
	v_dual_fmac_f32 v66, v37, v53 :: v_dual_fmac_f32 v71, v23, v16
	s_delay_alu instid0(VALU_DEP_3) | instskip(SKIP_1) | instid1(VALU_DEP_4)
	v_dual_add_f32 v34, v55, v21 :: v_dual_add_f32 v39, v42, v22
	v_fma_f32 v23, v30, v12, -v84
	v_add_f32_e32 v57, v22, v26
	v_sub_f32_e32 v63, v22, v26
	v_add_f32_e32 v37, v56, v62
	v_fmac_f32_e32 v80, v27, v18
	v_fma_f32 v27, v38, v53, -v88
	v_dual_fmac_f32 v55, -0.5, v35 :: v_dual_add_f32 v30, v20, v24
	v_fma_f32 v42, -0.5, v57, v42
	v_add_f32_e32 v22, v28, v23
	s_delay_alu instid0(VALU_DEP_4)
	v_add_f32_e32 v65, v23, v27
	v_dual_sub_f32 v84, v23, v27 :: v_dual_add_f32 v23, v29, v24
	v_add_f32_e32 v29, v37, v66
	v_fma_f32 v40, -0.5, v30, v40
	v_dual_sub_f32 v36, v62, v66 :: v_dual_sub_f32 v21, v21, v25
	v_add_f32_e32 v25, v34, v25
	v_dual_add_f32 v61, v43, v80 :: v_dual_add_f32 v32, v41, v58
	v_fma_f32 v41, -0.5, v33, v41
	v_dual_add_f32 v38, v62, v66 :: v_dual_fmamk_f32 v33, v31, 0x3f5db3d7, v40
	v_add_f32_e32 v62, v80, v87
	v_sub_f32_e32 v70, v85, v89
	v_fmac_f32_e32 v40, 0xbf5db3d7, v31
	v_fmamk_f32 v31, v36, 0x3f5db3d7, v55
	v_fmac_f32_e32 v55, 0xbf5db3d7, v36
	v_dual_sub_f32 v20, v20, v24 :: v_dual_fmac_f32 v43, -0.5, v62
	v_sub_f32_e32 v58, v80, v87
	s_delay_alu instid0(VALU_DEP_3) | instskip(NEXT) | instid1(VALU_DEP_3)
	v_dual_add_f32 v72, v71, v85 :: v_dual_mul_f32 v37, -0.5, v55
	v_fmamk_f32 v35, v20, 0xbf5db3d7, v41
	v_fmac_f32_e32 v41, 0x3f5db3d7, v20
	s_delay_alu instid0(VALU_DEP_4) | instskip(SKIP_4) | instid1(VALU_DEP_4)
	v_fmamk_f32 v57, v58, 0x3f5db3d7, v42
	v_dual_add_f32 v27, v22, v27 :: v_dual_add_f32 v24, v32, v64
	v_fmac_f32_e32 v56, -0.5, v38
	v_add_f32_e32 v20, v23, v25
	v_sub_f32_e32 v22, v23, v25
	v_dual_fmac_f32 v42, 0xbf5db3d7, v58 :: v_dual_sub_f32 v23, v24, v29
	s_delay_alu instid0(VALU_DEP_4)
	v_fmamk_f32 v34, v21, 0xbf5db3d7, v56
	v_fmac_f32_e32 v56, 0x3f5db3d7, v21
	v_add_f32_e32 v30, v61, v87
	v_fmamk_f32 v58, v63, 0xbf5db3d7, v43
	v_dual_fmac_f32 v43, 0x3f5db3d7, v63 :: v_dual_add_f32 v32, v72, v89
	v_fmac_f32_e32 v28, -0.5, v65
	v_add_f32_e32 v80, v85, v89
	v_dual_add_f32 v21, v24, v29 :: v_dual_mul_f32 v38, 0xbf5db3d7, v31
	global_wb scope:SCOPE_SE
	v_fmamk_f32 v29, v70, 0x3f5db3d7, v28
	v_dual_fmac_f32 v71, -0.5, v80 :: v_dual_add_f32 v26, v39, v26
	s_barrier_signal -1
	s_barrier_wait -1
	s_delay_alu instid0(VALU_DEP_2) | instskip(NEXT) | instid1(VALU_DEP_2)
	v_dual_mul_f32 v63, 0xbf5db3d7, v29 :: v_dual_fmac_f32 v38, 0.5, v34
	v_fmamk_f32 v36, v84, 0xbf5db3d7, v71
	v_dual_fmac_f32 v71, 0x3f5db3d7, v84 :: v_dual_add_f32 v24, v26, v27
	global_inv scope:SCOPE_SE
	v_dual_mul_f32 v61, 0x3f5db3d7, v36 :: v_dual_mul_f32 v64, -0.5, v71
	s_delay_alu instid0(VALU_DEP_1)
	v_fmac_f32_e32 v61, 0.5, v29
	v_add_f32_e32 v29, v35, v38
	v_fmac_f32_e32 v63, 0.5, v36
	v_mul_f32_e32 v39, -0.5, v56
	v_add_f32_e32 v25, v30, v32
	v_dual_fmac_f32 v37, 0x3f5db3d7, v56 :: v_dual_add_f32 v36, v57, v61
	s_delay_alu instid0(VALU_DEP_3) | instskip(NEXT) | instid1(VALU_DEP_1)
	v_dual_fmac_f32 v39, 0xbf5db3d7, v55 :: v_dual_fmac_f32 v28, 0xbf5db3d7, v70
	v_fmac_f32_e32 v64, 0xbf5db3d7, v28
	v_sub_f32_e32 v26, v26, v27
	v_dual_sub_f32 v27, v30, v32 :: v_dual_mul_f32 v32, 0x3f5db3d7, v34
	v_mul_f32_e32 v62, -0.5, v28
	v_add_f32_e32 v30, v40, v37
	v_sub_f32_e32 v34, v40, v37
	v_sub_f32_e32 v40, v57, v61
	v_fmac_f32_e32 v32, 0.5, v31
	v_add_f32_e32 v31, v41, v39
	s_delay_alu instid0(VALU_DEP_2) | instskip(SKIP_4) | instid1(VALU_DEP_1)
	v_dual_add_f32 v37, v58, v63 :: v_dual_add_f32 v28, v33, v32
	v_dual_sub_f32 v32, v33, v32 :: v_dual_sub_f32 v33, v35, v38
	v_sub_f32_e32 v35, v41, v39
	v_sub_f32_e32 v41, v58, v63
	v_dual_fmac_f32 v62, 0x3f5db3d7, v71 :: v_dual_add_f32 v39, v43, v64
	v_dual_sub_f32 v43, v43, v64 :: v_dual_add_f32 v38, v42, v62
	v_sub_f32_e32 v42, v42, v62
	ds_store_2addr_b64 v78, v[20:21], v[28:29] offset1:52
	ds_store_2addr_b64 v78, v[30:31], v[22:23] offset0:104 offset1:156
	ds_store_2addr_b64 v68, v[32:33], v[34:35] offset0:80 offset1:132
	;; [unrolled: 1-line block ×5, first 2 shown]
	global_wb scope:SCOPE_SE
	s_wait_dscnt 0x0
	s_barrier_signal -1
	s_barrier_wait -1
	global_inv scope:SCOPE_SE
	s_clause 0x5
	global_load_b64 v[61:62], v[59:60], off offset:2392
	global_load_b64 v[65:66], v[59:60], off offset:2808
	;; [unrolled: 1-line block ×6, first 2 shown]
	ds_load_2addr_b64 v[20:23], v67 offset0:56 offset1:108
	ds_load_2addr_b64 v[24:27], v67 offset0:160 offset1:212
	ds_load_2addr_b64 v[28:31], v69 offset0:8 offset1:60
	ds_load_2addr_b64 v[84:87], v78 offset1:52
	ds_load_2addr_b64 v[88:91], v78 offset0:104 offset1:156
	ds_load_2addr_b64 v[92:95], v68 offset0:80 offset1:132
	s_wait_loadcnt_dscnt 0x505
	v_mul_f32_e32 v32, v21, v62
	v_mul_f32_e32 v33, v20, v62
	s_wait_loadcnt 0x4
	v_mul_f32_e32 v35, v22, v66
	s_wait_loadcnt_dscnt 0x103
	v_dual_mul_f32 v36, v25, v58 :: v_dual_mul_f32 v41, v28, v56
	v_dual_mul_f32 v37, v24, v58 :: v_dual_mul_f32 v38, v27, v64
	v_mul_f32_e32 v40, v26, v64
	v_mul_f32_e32 v39, v29, v56
	s_wait_loadcnt 0x0
	v_mul_f32_e32 v42, v31, v60
	v_dual_mul_f32 v70, v30, v60 :: v_dual_fmac_f32 v41, v29, v55
	v_mul_f32_e32 v34, v23, v66
	v_fma_f32 v20, v20, v61, -v32
	v_fmac_f32_e32 v33, v21, v61
	v_fmac_f32_e32 v35, v23, v65
	v_fma_f32 v24, v24, v57, -v36
	v_fmac_f32_e32 v37, v25, v57
	v_fma_f32 v25, v26, v63, -v38
	;; [unrolled: 2-line block ×3, first 2 shown]
	v_fma_f32 v27, v30, v59, -v42
	s_wait_dscnt 0x0
	v_dual_fmac_f32 v70, v31, v59 :: v_dual_sub_f32 v31, v93, v41
	v_fma_f32 v21, v22, v65, -v34
	v_dual_sub_f32 v39, v89, v37 :: v_dual_lshlrev_b32 v80, 3, v76
	v_dual_sub_f32 v22, v84, v20 :: v_dual_sub_f32 v23, v85, v33
	s_delay_alu instid0(VALU_DEP_3)
	v_dual_sub_f32 v42, v86, v21 :: v_dual_sub_f32 v43, v87, v35
	v_sub_f32_e32 v38, v88, v24
	v_dual_sub_f32 v34, v90, v25 :: v_dual_sub_f32 v35, v91, v40
	v_sub_f32_e32 v30, v92, v26
	v_dual_sub_f32 v26, v94, v27 :: v_dual_sub_f32 v27, v95, v70
	v_fma_f32 v20, v84, 2.0, -v22
	v_fma_f32 v21, v85, 2.0, -v23
	;; [unrolled: 1-line block ×12, first 2 shown]
	ds_store_2addr_b64 v67, v[22:23], v[42:43] offset0:56 offset1:108
	ds_store_2addr_b64 v67, v[38:39], v[34:35] offset0:160 offset1:212
	;; [unrolled: 1-line block ×3, first 2 shown]
	ds_store_2addr_b64 v78, v[20:21], v[40:41] offset1:52
	ds_store_2addr_b64 v78, v[36:37], v[32:33] offset0:104 offset1:156
	ds_store_2addr_b64 v68, v[28:29], v[24:25] offset0:80 offset1:132
	global_wb scope:SCOPE_SE
	s_wait_dscnt 0x0
	s_barrier_signal -1
	s_barrier_wait -1
	global_inv scope:SCOPE_SE
	s_and_saveexec_b32 s2, vcc_lo
	s_cbranch_execz .LBB0_9
; %bb.8:
	global_load_b64 v[67:68], v77, s[14:15] offset:4992
	s_add_nc_u64 s[0:1], s[14:15], 0x1380
	s_clause 0xb
	global_load_b64 v[71:72], v77, s[0:1] offset:384
	global_load_b64 v[104:105], v77, s[0:1] offset:768
	;; [unrolled: 1-line block ×12, first 2 shown]
	ds_load_b64 v[69:70], v78
	v_add_nc_u32_e32 v128, 0x800, v80
	s_wait_loadcnt_dscnt 0xc00
	v_mul_f32_e32 v84, v70, v68
	v_mul_f32_e32 v85, v69, v68
	s_delay_alu instid0(VALU_DEP_2) | instskip(NEXT) | instid1(VALU_DEP_2)
	v_fma_f32 v84, v69, v67, -v84
	v_fmac_f32_e32 v85, v70, v67
	ds_store_b64 v78, v[84:85]
	ds_load_2addr_b64 v[67:70], v80 offset0:48 offset1:96
	ds_load_2addr_b64 v[84:87], v80 offset0:144 offset1:192
	v_add_nc_u32_e32 v127, 0x400, v80
	v_add_nc_u32_e32 v129, 0x1000, v80
	s_wait_loadcnt_dscnt 0xa01
	v_dual_mul_f32 v130, v68, v72 :: v_dual_mul_f32 v131, v70, v105
	v_mul_f32_e32 v126, v67, v72
	s_wait_loadcnt_dscnt 0x900
	v_dual_mul_f32 v72, v69, v105 :: v_dual_mul_f32 v105, v84, v107
	ds_load_2addr_b64 v[88:91], v127 offset0:112 offset1:160
	ds_load_2addr_b64 v[92:95], v128 offset0:80 offset1:128
	v_mul_f32_e32 v132, v85, v107
	ds_load_2addr_b64 v[96:99], v128 offset0:176 offset1:224
	ds_load_2addr_b64 v[100:103], v129 offset0:16 offset1:64
	s_wait_loadcnt 0x8
	v_mul_f32_e32 v133, v87, v109
	v_dual_mul_f32 v107, v86, v109 :: v_dual_fmac_f32 v126, v68, v71
	v_dual_fmac_f32 v105, v85, v106 :: v_dual_fmac_f32 v72, v70, v104
	s_wait_loadcnt_dscnt 0x703
	v_mul_f32_e32 v134, v89, v111
	v_mul_f32_e32 v109, v88, v111
	s_wait_loadcnt_dscnt 0x502
	v_dual_mul_f32 v135, v91, v113 :: v_dual_mul_f32 v136, v93, v115
	s_wait_loadcnt_dscnt 0x301
	v_dual_mul_f32 v111, v90, v113 :: v_dual_mul_f32 v138, v97, v119
	v_mul_f32_e32 v113, v92, v115
	s_wait_loadcnt_dscnt 0x100
	v_dual_mul_f32 v137, v95, v117 :: v_dual_mul_f32 v140, v101, v123
	v_mul_f32_e32 v115, v94, v117
	v_mul_f32_e32 v117, v96, v119
	;; [unrolled: 1-line block ×5, first 2 shown]
	s_wait_loadcnt 0x0
	v_mul_f32_e32 v141, v103, v125
	v_mul_f32_e32 v123, v102, v125
	v_fma_f32 v125, v67, v71, -v130
	v_fma_f32 v71, v69, v104, -v131
	;; [unrolled: 1-line block ×4, first 2 shown]
	v_fmac_f32_e32 v107, v87, v108
	v_fma_f32 v108, v88, v110, -v134
	v_fmac_f32_e32 v109, v89, v110
	v_fma_f32 v110, v90, v112, -v135
	;; [unrolled: 2-line block ×8, first 2 shown]
	v_fmac_f32_e32 v123, v103, v124
	ds_store_2addr_b64 v80, v[125:126], v[71:72] offset0:48 offset1:96
	ds_store_2addr_b64 v80, v[104:105], v[106:107] offset0:144 offset1:192
	;; [unrolled: 1-line block ×6, first 2 shown]
.LBB0_9:
	s_wait_alu 0xfffe
	s_or_b32 exec_lo, exec_lo, s2
	global_wb scope:SCOPE_SE
	s_wait_dscnt 0x0
	s_barrier_signal -1
	s_barrier_wait -1
	global_inv scope:SCOPE_SE
	s_and_saveexec_b32 s0, vcc_lo
	s_cbranch_execz .LBB0_11
; %bb.10:
	v_add_nc_u32_e32 v24, 0x800, v78
	v_add_nc_u32_e32 v25, 0xc00, v78
	ds_load_2addr_b64 v[20:23], v78 offset1:48
	ds_load_2addr_b64 v[40:43], v78 offset0:96 offset1:144
	ds_load_2addr_b64 v[36:39], v78 offset0:192 offset1:240
	;; [unrolled: 1-line block ×5, first 2 shown]
	ds_load_b64 v[45:46], v78 offset:4608
.LBB0_11:
	s_wait_alu 0xfffe
	s_or_b32 exec_lo, exec_lo, s0
	global_wb scope:SCOPE_SE
	s_wait_dscnt 0x0
	s_barrier_signal -1
	s_barrier_wait -1
	global_inv scope:SCOPE_SE
	s_and_saveexec_b32 s0, vcc_lo
	s_cbranch_execz .LBB0_13
; %bb.12:
	v_dual_sub_f32 v88, v22, v45 :: v_dual_add_f32 v107, v25, v43
	v_dual_add_f32 v104, v46, v23 :: v_dual_sub_f32 v85, v36, v30
	v_dual_sub_f32 v86, v40, v26 :: v_dual_sub_f32 v87, v38, v28
	s_delay_alu instid0(VALU_DEP_3) | instskip(NEXT) | instid1(VALU_DEP_2)
	v_dual_mul_f32 v100, 0xbf7e222b, v88 :: v_dual_add_f32 v109, v29, v39
	v_dual_add_f32 v106, v27, v41 :: v_dual_mul_f32 v101, 0xbe750f2a, v86
	s_delay_alu instid0(VALU_DEP_2) | instskip(SKIP_2) | instid1(VALU_DEP_4)
	v_dual_sub_f32 v84, v42, v24 :: v_dual_fmamk_f32 v67, v104, 0x3df6dbef, v100
	v_add_f32_e32 v108, v31, v37
	v_dual_sub_f32 v110, v23, v46 :: v_dual_mul_f32 v105, 0xbf52af12, v87
	v_dual_fmamk_f32 v68, v106, 0xbf788fa5, v101 :: v_dual_sub_f32 v111, v41, v27
	s_delay_alu instid0(VALU_DEP_4) | instskip(SKIP_2) | instid1(VALU_DEP_3)
	v_dual_add_f32 v67, v21, v67 :: v_dual_mul_f32 v102, 0x3f6f5d39, v84
	v_dual_add_f32 v90, v45, v22 :: v_dual_mul_f32 v103, 0x3eedf032, v85
	v_add_f32_e32 v91, v26, v40
	v_dual_add_f32 v67, v68, v67 :: v_dual_mul_f32 v112, 0xbf7e222b, v110
	v_dual_mul_f32 v113, 0xbe750f2a, v111 :: v_dual_sub_f32 v114, v43, v25
	s_delay_alu instid0(VALU_DEP_4) | instskip(SKIP_1) | instid1(VALU_DEP_4)
	v_fmamk_f32 v68, v108, 0x3f62ad3f, v103
	v_dual_sub_f32 v89, v32, v34 :: v_dual_add_f32 v118, v35, v33
	v_fma_f32 v70, 0x3df6dbef, v90, -v112
	v_dual_fmamk_f32 v69, v107, 0xbeb58ec6, v102 :: v_dual_add_f32 v92, v24, v42
	v_dual_mul_f32 v115, 0x3f6f5d39, v114 :: v_dual_sub_f32 v120, v39, v29
	s_delay_alu instid0(VALU_DEP_2) | instskip(SKIP_3) | instid1(VALU_DEP_4)
	v_dual_add_f32 v70, v20, v70 :: v_dual_add_f32 v67, v69, v67
	v_fmamk_f32 v69, v109, 0x3f116cb1, v105
	v_dual_mul_f32 v116, 0xbf29c268, v89 :: v_dual_sub_f32 v117, v37, v31
	v_dual_add_f32 v93, v30, v36 :: v_dual_sub_f32 v122, v33, v35
	v_add_f32_e32 v67, v68, v67
	v_fma_f32 v68, 0xbf788fa5, v91, -v113
	v_dual_mul_f32 v98, 0xbf6f5d39, v88 :: v_dual_add_f32 v95, v28, v38
	v_mul_f32_e32 v121, 0xbf52af12, v120
	s_delay_alu instid0(VALU_DEP_3) | instskip(SKIP_4) | instid1(VALU_DEP_4)
	v_dual_add_f32 v67, v69, v67 :: v_dual_add_f32 v68, v68, v70
	v_fma_f32 v69, 0xbeb58ec6, v92, -v115
	v_fmamk_f32 v70, v118, 0xbf3f9e67, v116
	v_dual_mul_f32 v119, 0x3eedf032, v117 :: v_dual_add_f32 v94, v34, v32
	v_dual_mul_f32 v123, 0xbf29c268, v122 :: v_dual_mul_f32 v96, 0xbf29c268, v88
	v_dual_add_f32 v69, v69, v68 :: v_dual_mul_f32 v126, 0xbf7e222b, v85
	s_delay_alu instid0(VALU_DEP_4) | instskip(NEXT) | instid1(VALU_DEP_4)
	v_add_f32_e32 v68, v70, v67
	v_fma_f32 v71, 0x3f62ad3f, v93, -v119
	v_fma_f32 v70, 0x3f116cb1, v95, -v121
	v_mul_f32_e32 v125, 0xbf6f5d39, v110
	v_mul_f32_e32 v151, 0x3f116cb1, v108
	;; [unrolled: 1-line block ×3, first 2 shown]
	v_add_f32_e32 v67, v71, v69
	v_mul_f32_e32 v99, 0x3f29c268, v86
	v_mul_f32_e32 v127, 0x3f29c268, v111
	;; [unrolled: 1-line block ×3, first 2 shown]
	v_fmamk_f32 v137, v107, 0x3f116cb1, v135
	v_add_f32_e32 v67, v70, v67
	v_fma_f32 v70, 0xbf3f9e67, v94, -v123
	v_fmamk_f32 v69, v104, 0xbeb58ec6, v98
	v_mul_f32_e32 v124, 0x3eedf032, v84
	v_fma_f32 v72, 0xbf3f9e67, v91, -v127
	v_dual_mul_f32 v129, 0x3eedf032, v114 :: v_dual_mul_f32 v152, 0x3eedf032, v111
	v_dual_add_f32 v67, v70, v67 :: v_dual_mul_f32 v132, 0x3e750f2a, v120
	v_fma_f32 v70, 0xbeb58ec6, v90, -v125
	v_dual_add_f32 v69, v21, v69 :: v_dual_mul_f32 v128, 0x3e750f2a, v87
	v_mul_f32_e32 v131, 0xbf7e222b, v117
	v_mul_f32_e32 v134, 0x3f52af12, v122
	s_delay_alu instid0(VALU_DEP_4) | instskip(SKIP_1) | instid1(VALU_DEP_4)
	v_dual_add_f32 v70, v20, v70 :: v_dual_fmamk_f32 v71, v106, 0xbf3f9e67, v99
	v_fmac_f32_e32 v112, 0x3df6dbef, v90
	v_fma_f32 v97, 0x3df6dbef, v93, -v131
	v_mul_f32_e32 v136, 0xbf29c268, v110
	s_delay_alu instid0(VALU_DEP_4) | instskip(SKIP_4) | instid1(VALU_DEP_3)
	v_dual_add_f32 v70, v72, v70 :: v_dual_add_f32 v69, v71, v69
	v_fma_f32 v72, 0x3f62ad3f, v92, -v129
	v_fmamk_f32 v71, v107, 0x3f62ad3f, v124
	v_mul_f32_e32 v144, 0xbf788fa5, v104
	v_dual_mul_f32 v157, 0x3f52af12, v117 :: v_dual_add_f32 v112, v20, v112
	v_dual_add_f32 v72, v72, v70 :: v_dual_add_f32 v69, v71, v69
	v_fmamk_f32 v71, v108, 0x3df6dbef, v126
	v_mul_f32_e32 v133, 0x3f7e222b, v86
	v_mul_f32_e32 v146, 0x3f62ad3f, v106
	v_fmamk_f32 v154, v91, 0x3f62ad3f, v152
	v_mul_f32_e32 v138, 0x3e750f2a, v85
	v_add_f32_e32 v69, v71, v69
	v_fmamk_f32 v71, v109, 0xbf788fa5, v128
	v_mul_f32_e32 v139, 0x3f7e222b, v111
	v_mul_f32_e32 v142, 0xbf6f5d39, v89
	v_fmamk_f32 v148, v86, 0xbeedf032, v146
	s_delay_alu instid0(VALU_DEP_4)
	v_dual_mul_f32 v150, 0xbe750f2a, v110 :: v_dual_add_f32 v69, v71, v69
	v_fmamk_f32 v71, v118, 0x3f116cb1, v130
	v_mul_f32_e32 v156, 0x3df6dbef, v118
	v_fma_f32 v140, 0x3df6dbef, v91, -v139
	v_mul_f32_e32 v141, 0xbf52af12, v114
	v_mul_f32_e32 v153, 0xbeb58ec6, v109
	v_dual_add_f32 v70, v71, v69 :: v_dual_fmamk_f32 v69, v104, 0xbf3f9e67, v96
	v_add_f32_e32 v71, v97, v72
	v_fma_f32 v72, 0xbf788fa5, v95, -v132
	v_fmamk_f32 v97, v106, 0x3df6dbef, v133
	v_fma_f32 v98, 0xbeb58ec6, v104, -v98
	v_add_f32_e32 v69, v21, v69
	v_mul_f32_e32 v143, 0x3e750f2a, v117
	v_add_f32_e32 v71, v72, v71
	v_fma_f32 v72, 0x3f116cb1, v94, -v134
	v_mul_f32_e32 v145, 0x3eedf032, v120
	v_add_f32_e32 v97, v97, v69
	v_add_f32_e32 v98, v21, v98
	s_delay_alu instid0(VALU_DEP_4) | instskip(SKIP_4) | instid1(VALU_DEP_4)
	v_dual_mul_f32 v158, 0xbf6f5d39, v120 :: v_dual_add_f32 v69, v72, v71
	v_fma_f32 v71, 0xbf3f9e67, v90, -v136
	v_fma_f32 v128, 0xbf788fa5, v109, -v128
	v_mul_f32_e32 v147, 0xbf6f5d39, v122
	v_fma_f32 v96, 0xbf3f9e67, v104, -v96
	v_dual_fmac_f32 v136, 0xbf3f9e67, v90 :: v_dual_add_f32 v71, v20, v71
	v_fma_f32 v99, 0xbf3f9e67, v106, -v99
	v_fma_f32 v124, 0x3f62ad3f, v107, -v124
	s_delay_alu instid0(VALU_DEP_4) | instskip(NEXT) | instid1(VALU_DEP_4)
	v_add_f32_e32 v96, v21, v96
	v_dual_add_f32 v72, v137, v97 :: v_dual_add_f32 v71, v140, v71
	v_fma_f32 v140, 0x3f116cb1, v92, -v141
	v_dual_mul_f32 v137, 0x3eedf032, v87 :: v_dual_add_f32 v136, v20, v136
	v_dual_fmac_f32 v123, 0xbf3f9e67, v94 :: v_dual_add_f32 v22, v22, v20
	s_delay_alu instid0(VALU_DEP_3)
	v_add_f32_e32 v71, v140, v71
	v_fma_f32 v140, 0xbf788fa5, v93, -v143
	v_fma_f32 v100, 0x3df6dbef, v104, -v100
	;; [unrolled: 1-line block ×3, first 2 shown]
	v_fmac_f32_e32 v113, 0xbf788fa5, v91
	v_fma_f32 v105, 0x3f116cb1, v109, -v105
	v_add_f32_e32 v71, v140, v71
	v_fma_f32 v140, 0x3f62ad3f, v95, -v145
	v_add_f32_e32 v98, v99, v98
	v_dual_add_f32 v112, v113, v112 :: v_dual_fmac_f32 v119, 0x3f62ad3f, v93
	v_fmac_f32_e32 v121, 0x3f116cb1, v95
	s_delay_alu instid0(VALU_DEP_4) | instskip(SKIP_4) | instid1(VALU_DEP_4)
	v_add_f32_e32 v71, v140, v71
	v_fma_f32 v140, 0xbeb58ec6, v94, -v147
	v_add_f32_e32 v98, v124, v98
	v_fma_f32 v124, 0x3df6dbef, v108, -v126
	v_dual_fmac_f32 v129, 0x3f62ad3f, v92 :: v_dual_add_f32 v22, v40, v22
	v_dual_add_f32 v71, v140, v71 :: v_dual_fmamk_f32 v140, v90, 0xbf788fa5, v150
	s_delay_alu instid0(VALU_DEP_3) | instskip(NEXT) | instid1(VALU_DEP_3)
	v_dual_add_f32 v124, v124, v98 :: v_dual_fmac_f32 v145, 0x3f62ad3f, v95
	v_dual_fmac_f32 v115, 0xbeb58ec6, v92 :: v_dual_add_f32 v22, v42, v22
	s_delay_alu instid0(VALU_DEP_3) | instskip(SKIP_1) | instid1(VALU_DEP_4)
	v_dual_add_f32 v140, v20, v140 :: v_dual_fmac_f32 v131, 0x3df6dbef, v93
	v_mul_f32_e32 v155, 0xbf29c268, v114
	v_dual_mul_f32 v149, 0xbf3f9e67, v107 :: v_dual_add_f32 v124, v128, v124
	s_delay_alu instid0(VALU_DEP_3) | instskip(NEXT) | instid1(VALU_DEP_3)
	v_dual_add_f32 v140, v154, v140 :: v_dual_fmac_f32 v147, 0xbeb58ec6, v94
	v_fmamk_f32 v154, v92, 0xbf3f9e67, v155
	v_add_f32_e32 v100, v21, v100
	v_mul_f32_e32 v128, 0x3f62ad3f, v118
	v_mul_f32_e32 v113, 0x3f116cb1, v104
	v_dual_add_f32 v23, v23, v21 :: v_dual_mul_f32 v40, 0xbeedf032, v110
	v_add_f32_e32 v140, v154, v140
	v_fma_f32 v133, 0x3df6dbef, v106, -v133
	v_fmamk_f32 v97, v108, 0xbf788fa5, v138
	v_fmamk_f32 v154, v93, 0x3f116cb1, v157
	v_fma_f32 v138, 0xbf788fa5, v108, -v138
	v_fmac_f32_e32 v132, 0xbf788fa5, v95
	v_add_f32_e32 v96, v133, v96
	v_add_f32_e32 v72, v97, v72
	v_fmamk_f32 v97, v109, 0x3f62ad3f, v137
	v_dual_fmac_f32 v125, 0xbeb58ec6, v90 :: v_dual_add_f32 v140, v154, v140
	v_mul_f32_e32 v154, 0x3f7e222b, v122
	s_delay_alu instid0(VALU_DEP_3) | instskip(SKIP_1) | instid1(VALU_DEP_4)
	v_dual_fmac_f32 v139, 0x3df6dbef, v91 :: v_dual_add_f32 v72, v97, v72
	v_fmamk_f32 v97, v118, 0xbeb58ec6, v142
	v_add_f32_e32 v125, v20, v125
	v_fmac_f32_e32 v127, 0xbf3f9e67, v91
	v_dual_fmac_f32 v134, 0x3f116cb1, v94 :: v_dual_add_f32 v23, v41, v23
	s_delay_alu instid0(VALU_DEP_4) | instskip(NEXT) | instid1(VALU_DEP_3)
	v_dual_add_f32 v72, v97, v72 :: v_dual_fmamk_f32 v97, v88, 0x3e750f2a, v144
	v_add_f32_e32 v125, v127, v125
	v_fma_f32 v127, 0xbf788fa5, v106, -v101
	s_delay_alu instid0(VALU_DEP_4) | instskip(NEXT) | instid1(VALU_DEP_4)
	v_add_f32_e32 v23, v43, v23
	v_dual_mul_f32 v42, 0xbf52af12, v111 :: v_dual_add_f32 v97, v21, v97
	s_delay_alu instid0(VALU_DEP_3) | instskip(SKIP_2) | instid1(VALU_DEP_4)
	v_dual_add_f32 v125, v129, v125 :: v_dual_add_f32 v100, v127, v100
	v_mul_f32_e32 v127, 0xbe750f2a, v114
	v_mul_f32_e32 v129, 0x3f29c268, v117
	v_add_f32_e32 v97, v148, v97
	v_fmamk_f32 v148, v84, 0x3f29c268, v149
	v_add_f32_e32 v100, v102, v100
	v_fma_f32 v102, 0x3f62ad3f, v108, -v103
	v_fmac_f32_e32 v143, 0xbf788fa5, v93
	v_fmac_f32_e32 v149, 0xbf29c268, v84
	v_dual_add_f32 v97, v148, v97 :: v_dual_fmamk_f32 v148, v85, 0xbf52af12, v151
	v_fma_f32 v133, 0x3f116cb1, v107, -v135
	v_add_f32_e32 v102, v102, v100
	v_add_f32_e32 v22, v36, v22
	s_delay_alu instid0(VALU_DEP_4) | instskip(NEXT) | instid1(VALU_DEP_4)
	v_dual_fmac_f32 v144, 0xbe750f2a, v88 :: v_dual_add_f32 v97, v148, v97
	v_dual_fmamk_f32 v148, v87, 0x3f6f5d39, v153 :: v_dual_add_f32 v133, v133, v96
	s_delay_alu instid0(VALU_DEP_4) | instskip(SKIP_1) | instid1(VALU_DEP_3)
	v_add_f32_e32 v102, v105, v102
	v_fma_f32 v105, 0xbf3f9e67, v118, -v116
	v_dual_add_f32 v22, v38, v22 :: v_dual_add_f32 v97, v148, v97
	v_fmamk_f32 v148, v89, 0xbf7e222b, v156
	v_fmac_f32_e32 v153, 0xbf6f5d39, v87
	v_fmac_f32_e32 v156, 0x3f7e222b, v89
	s_delay_alu instid0(VALU_DEP_4) | instskip(SKIP_3) | instid1(VALU_DEP_4)
	v_add_f32_e32 v22, v32, v22
	v_mul_f32_e32 v32, 0xbf6f5d39, v117
	v_dual_add_f32 v97, v148, v97 :: v_dual_fmamk_f32 v148, v95, 0xbeb58ec6, v158
	v_fmac_f32_e32 v146, 0x3eedf032, v86
	v_add_f32_e32 v22, v34, v22
	s_delay_alu instid0(VALU_DEP_3) | instskip(SKIP_1) | instid1(VALU_DEP_3)
	v_dual_fmamk_f32 v34, v93, 0xbeb58ec6, v32 :: v_dual_add_f32 v135, v148, v140
	v_fmamk_f32 v140, v94, 0x3df6dbef, v154
	v_add_f32_e32 v22, v28, v22
	s_delay_alu instid0(VALU_DEP_2) | instskip(SKIP_2) | instid1(VALU_DEP_4)
	v_dual_add_f32 v96, v140, v135 :: v_dual_add_f32 v135, v139, v136
	v_fmac_f32_e32 v141, 0x3f116cb1, v92
	v_fma_f32 v136, 0x3f62ad3f, v109, -v137
	v_add_f32_e32 v22, v30, v22
	v_fma_f32 v30, 0xbeb58ec6, v95, -v158
	s_delay_alu instid0(VALU_DEP_2) | instskip(NEXT) | instid1(VALU_DEP_1)
	v_dual_add_f32 v135, v141, v135 :: v_dual_add_f32 v24, v24, v22
	v_dual_add_f32 v135, v143, v135 :: v_dual_add_f32 v24, v26, v24
	s_delay_alu instid0(VALU_DEP_1) | instskip(NEXT) | instid1(VALU_DEP_2)
	v_add_f32_e32 v126, v145, v135
	v_add_f32_e32 v24, v45, v24
	s_delay_alu instid0(VALU_DEP_2)
	v_add_f32_e32 v98, v147, v126
	v_fma_f32 v126, 0x3f116cb1, v118, -v130
	v_mul_f32_e32 v130, 0x3f62ad3f, v104
	v_fmac_f32_e32 v151, 0x3f52af12, v85
	v_add_f32_e32 v23, v37, v23
	v_fmamk_f32 v37, v90, 0x3f62ad3f, v40
	v_dual_add_f32 v101, v126, v124 :: v_dual_add_f32 v124, v131, v125
	s_delay_alu instid0(VALU_DEP_2) | instskip(NEXT) | instid1(VALU_DEP_2)
	v_dual_add_f32 v36, v20, v37 :: v_dual_fmamk_f32 v37, v91, 0x3f116cb1, v42
	v_add_f32_e32 v103, v132, v124
	v_mul_f32_e32 v124, 0xbf3f9e67, v108
	v_mul_f32_e32 v108, 0xbeb58ec6, v108
	s_delay_alu instid0(VALU_DEP_4) | instskip(NEXT) | instid1(VALU_DEP_4)
	v_dual_mul_f32 v125, 0x3df6dbef, v109 :: v_dual_add_f32 v36, v37, v36
	v_dual_add_f32 v100, v134, v103 :: v_dual_add_f32 v103, v115, v112
	v_mul_f32_e32 v115, 0xbeb58ec6, v106
	v_dual_mul_f32 v106, 0x3f116cb1, v106 :: v_dual_add_f32 v133, v138, v133
	v_fmamk_f32 v112, v88, 0x3f52af12, v113
	s_delay_alu instid0(VALU_DEP_4) | instskip(NEXT) | instid1(VALU_DEP_4)
	v_dual_add_f32 v116, v119, v103 :: v_dual_add_f32 v103, v105, v102
	v_fmamk_f32 v105, v86, 0x3f6f5d39, v115
	s_delay_alu instid0(VALU_DEP_3) | instskip(NEXT) | instid1(VALU_DEP_3)
	v_dual_add_f32 v133, v136, v133 :: v_dual_add_f32 v102, v21, v112
	v_dual_add_f32 v116, v121, v116 :: v_dual_mul_f32 v119, 0xbf52af12, v110
	v_fma_f32 v136, 0xbeb58ec6, v118, -v142
	s_delay_alu instid0(VALU_DEP_3) | instskip(NEXT) | instid1(VALU_DEP_3)
	v_dual_mul_f32 v112, 0xbf788fa5, v107 :: v_dual_add_f32 v105, v105, v102
	v_add_f32_e32 v102, v123, v116
	s_delay_alu instid0(VALU_DEP_4)
	v_fmamk_f32 v116, v90, 0x3f116cb1, v119
	v_mul_f32_e32 v123, 0xbf6f5d39, v111
	v_add_f32_e32 v99, v136, v133
	v_fmamk_f32 v121, v84, 0x3e750f2a, v112
	v_dual_add_f32 v23, v39, v23 :: v_dual_fmac_f32 v112, 0xbe750f2a, v84
	v_add_f32_e32 v116, v20, v116
	v_fmamk_f32 v126, v91, 0xbeb58ec6, v123
	v_mul_f32_e32 v39, 0xbf7e222b, v114
	s_delay_alu instid0(VALU_DEP_4) | instskip(NEXT) | instid1(VALU_DEP_3)
	v_dual_add_f32 v23, v33, v23 :: v_dual_fmamk_f32 v132, v86, 0x3f52af12, v106
	v_dual_mul_f32 v107, 0x3df6dbef, v107 :: v_dual_add_f32 v116, v126, v116
	v_fmamk_f32 v126, v92, 0xbf788fa5, v127
	s_delay_alu instid0(VALU_DEP_4) | instskip(NEXT) | instid1(VALU_DEP_4)
	v_fmamk_f32 v37, v92, 0x3df6dbef, v39
	v_add_f32_e32 v23, v35, v23
	v_fmac_f32_e32 v113, 0xbf52af12, v88
	s_delay_alu instid0(VALU_DEP_4)
	v_dual_fmac_f32 v115, 0xbf6f5d39, v86 :: v_dual_add_f32 v104, v126, v116
	v_fmamk_f32 v116, v93, 0xbf3f9e67, v129
	v_mul_f32_e32 v126, 0x3f7e222b, v120
	v_add_f32_e32 v36, v37, v36
	v_mul_f32_e32 v37, 0xbf29c268, v120
	v_fmac_f32_e32 v106, 0xbf52af12, v86
	v_add_f32_e32 v104, v116, v104
	v_dual_fmamk_f32 v116, v95, 0x3df6dbef, v126 :: v_dual_add_f32 v105, v121, v105
	v_fmamk_f32 v121, v85, 0xbf29c268, v124
	v_dual_fmac_f32 v124, 0x3f29c268, v85 :: v_dual_add_f32 v29, v29, v23
	s_delay_alu instid0(VALU_DEP_3) | instskip(SKIP_1) | instid1(VALU_DEP_3)
	v_add_f32_e32 v104, v116, v104
	v_add_f32_e32 v28, v34, v36
	v_dual_mul_f32 v34, 0xbe750f2a, v122 :: v_dual_add_f32 v29, v31, v29
	v_fmamk_f32 v31, v95, 0xbf3f9e67, v37
	v_mul_f32_e32 v131, 0x3eedf032, v122
	v_add_f32_e32 v105, v121, v105
	v_fmamk_f32 v121, v87, 0xbf7e222b, v125
	s_delay_alu instid0(VALU_DEP_4) | instskip(NEXT) | instid1(VALU_DEP_4)
	v_dual_add_f32 v25, v25, v29 :: v_dual_add_f32 v28, v31, v28
	v_fmamk_f32 v116, v94, 0x3f62ad3f, v131
	v_fmamk_f32 v29, v94, 0xbf788fa5, v34
	s_delay_alu instid0(VALU_DEP_4) | instskip(SKIP_1) | instid1(VALU_DEP_4)
	v_add_f32_e32 v105, v121, v105
	v_fmamk_f32 v121, v89, 0xbeedf032, v128
	v_dual_mul_f32 v109, 0xbf3f9e67, v109 :: v_dual_add_f32 v104, v116, v104
	s_delay_alu instid0(VALU_DEP_4) | instskip(SKIP_1) | instid1(VALU_DEP_4)
	v_add_f32_e32 v22, v29, v28
	v_fmamk_f32 v116, v85, 0x3f6f5d39, v108
	v_add_f32_e32 v105, v121, v105
	v_fmamk_f32 v121, v88, 0x3eedf032, v130
	v_add_f32_e32 v25, v27, v25
	v_add_f32_e32 v27, v21, v144
	v_fma_f32 v28, 0xbf788fa5, v90, -v150
	v_fmamk_f32 v43, v87, 0x3f29c268, v109
	v_add_f32_e32 v121, v21, v121
	s_delay_alu instid0(VALU_DEP_4) | instskip(NEXT) | instid1(VALU_DEP_4)
	v_dual_add_f32 v29, v21, v113 :: v_dual_add_f32 v26, v146, v27
	v_dual_add_f32 v27, v20, v28 :: v_dual_fmac_f32 v108, 0xbf6f5d39, v85
	s_delay_alu instid0(VALU_DEP_3) | instskip(SKIP_4) | instid1(VALU_DEP_4)
	v_add_f32_e32 v121, v132, v121
	v_fmamk_f32 v132, v84, 0x3f7e222b, v107
	v_fma_f32 v28, 0x3f62ad3f, v91, -v152
	v_dual_add_f32 v26, v149, v26 :: v_dual_add_f32 v29, v115, v29
	v_fmac_f32_e32 v128, 0x3eedf032, v89
	v_add_f32_e32 v41, v132, v121
	s_delay_alu instid0(VALU_DEP_4) | instskip(SKIP_2) | instid1(VALU_DEP_4)
	v_add_f32_e32 v27, v28, v27
	v_fma_f32 v28, 0xbf3f9e67, v92, -v155
	v_dual_add_f32 v26, v151, v26 :: v_dual_add_f32 v29, v112, v29
	v_add_f32_e32 v41, v116, v41
	v_fmac_f32_e32 v125, 0x3f7e222b, v87
	s_delay_alu instid0(VALU_DEP_4) | instskip(SKIP_1) | instid1(VALU_DEP_4)
	v_add_f32_e32 v27, v28, v27
	v_fma_f32 v28, 0x3f116cb1, v93, -v157
	v_dual_add_f32 v26, v153, v26 :: v_dual_add_f32 v41, v43, v41
	v_dual_add_f32 v29, v124, v29 :: v_dual_fmac_f32 v130, 0xbeedf032, v88
	s_delay_alu instid0(VALU_DEP_3) | instskip(NEXT) | instid1(VALU_DEP_3)
	v_dual_add_f32 v28, v28, v27 :: v_dual_mul_f32 v33, 0xbf788fa5, v118
	v_add_f32_e32 v27, v156, v26
	v_fma_f32 v26, 0x3f116cb1, v90, -v119
	s_delay_alu instid0(VALU_DEP_3) | instskip(SKIP_2) | instid1(VALU_DEP_4)
	v_dual_add_f32 v21, v21, v130 :: v_dual_add_f32 v28, v30, v28
	v_fma_f32 v30, 0x3df6dbef, v94, -v154
	v_fmac_f32_e32 v107, 0xbf7e222b, v84
	v_add_f32_e32 v31, v20, v26
	s_delay_alu instid0(VALU_DEP_4) | instskip(NEXT) | instid1(VALU_DEP_4)
	v_add_f32_e32 v21, v106, v21
	v_dual_fmac_f32 v109, 0xbf29c268, v87 :: v_dual_add_f32 v26, v30, v28
	v_add_f32_e32 v28, v125, v29
	v_fma_f32 v29, 0x3f62ad3f, v90, -v40
	v_fmamk_f32 v35, v89, 0x3e750f2a, v33
	v_add_f32_e32 v21, v107, v21
	v_fmac_f32_e32 v33, 0xbe750f2a, v89
	v_fma_f32 v34, 0xbf788fa5, v94, -v34
	v_add_f32_e32 v20, v20, v29
	v_add_f32_e32 v23, v35, v41
	v_fma_f32 v35, 0xbeb58ec6, v91, -v123
	v_fma_f32 v29, 0x3f116cb1, v91, -v42
	s_delay_alu instid0(VALU_DEP_2) | instskip(SKIP_1) | instid1(VALU_DEP_3)
	v_dual_add_f32 v21, v108, v21 :: v_dual_add_f32 v30, v35, v31
	v_fma_f32 v31, 0xbf788fa5, v92, -v127
	v_add_f32_e32 v20, v29, v20
	v_fma_f32 v29, 0x3df6dbef, v92, -v39
	s_delay_alu instid0(VALU_DEP_4) | instskip(NEXT) | instid1(VALU_DEP_4)
	v_add_f32_e32 v35, v109, v21
	v_dual_add_f32 v21, v128, v28 :: v_dual_add_f32 v30, v31, v30
	v_fma_f32 v31, 0xbf3f9e67, v93, -v129
	s_delay_alu instid0(VALU_DEP_4) | instskip(SKIP_2) | instid1(VALU_DEP_4)
	v_add_f32_e32 v20, v29, v20
	v_fma_f32 v29, 0xbeb58ec6, v93, -v32
	v_and_b32_e32 v32, 0xffff, v79
	v_add_f32_e32 v30, v31, v30
	v_fma_f32 v31, 0x3df6dbef, v95, -v126
	s_delay_alu instid0(VALU_DEP_4) | instskip(SKIP_2) | instid1(VALU_DEP_4)
	v_add_f32_e32 v20, v29, v20
	v_fma_f32 v29, 0xbf3f9e67, v95, -v37
	v_dual_add_f32 v25, v46, v25 :: v_dual_lshlrev_b32 v32, 3, v32
	v_add_f32_e32 v30, v31, v30
	v_fma_f32 v31, 0x3f62ad3f, v94, -v131
	s_delay_alu instid0(VALU_DEP_4) | instskip(NEXT) | instid1(VALU_DEP_2)
	v_add_f32_e32 v36, v29, v20
	v_dual_add_f32 v29, v33, v35 :: v_dual_add_f32 v20, v31, v30
	s_delay_alu instid0(VALU_DEP_2)
	v_add_f32_e32 v28, v34, v36
	ds_store_2addr_b64 v32, v[24:25], v[22:23] offset1:1
	ds_store_2addr_b64 v32, v[104:105], v[102:103] offset0:2 offset1:3
	ds_store_2addr_b64 v32, v[100:101], v[98:99] offset0:4 offset1:5
	ds_store_2addr_b64 v32, v[96:97], v[26:27] offset0:6 offset1:7
	ds_store_2addr_b64 v32, v[71:72], v[69:70] offset0:8 offset1:9
	ds_store_2addr_b64 v32, v[67:68], v[20:21] offset0:10 offset1:11
	ds_store_b64 v32, v[28:29] offset:96
.LBB0_13:
	s_wait_alu 0xfffe
	s_or_b32 exec_lo, exec_lo, s0
	global_wb scope:SCOPE_SE
	s_wait_dscnt 0x0
	s_barrier_signal -1
	s_barrier_wait -1
	global_inv scope:SCOPE_SE
	ds_load_2addr_b64 v[23:26], v78 offset0:104 offset1:156
	v_add_nc_u32_e32 v21, 0x800, v78
	v_add_nc_u32_e32 v20, 0x400, v78
	ds_load_2addr_b64 v[27:30], v21 offset0:56 offset1:108
	ds_load_2addr_b64 v[31:34], v21 offset0:160 offset1:212
	s_wait_dscnt 0x2
	v_mul_f32_e32 v43, v9, v26
	v_dual_mul_f32 v9, v9, v25 :: v_dual_add_nc_u32 v22, 0x1000, v78
	s_delay_alu instid0(VALU_DEP_2)
	v_fmac_f32_e32 v43, v8, v25
	ds_load_2addr_b64 v[35:38], v20 offset0:80 offset1:132
	ds_load_2addr_b64 v[39:42], v22 offset0:8 offset1:60
	ds_load_2addr_b64 v[67:70], v78 offset1:52
	v_fma_f32 v8, v8, v26, -v9
	s_wait_dscnt 0x3
	v_mul_f32_e32 v25, v52, v34
	v_mul_f32_e32 v26, v52, v33
	global_wb scope:SCOPE_SE
	s_wait_dscnt 0x0
	s_barrier_signal -1
	s_barrier_wait -1
	global_inv scope:SCOPE_SE
	v_mul_f32_e32 v46, v7, v30
	v_mul_f32_e32 v9, v11, v28
	s_delay_alu instid0(VALU_DEP_2) | instskip(SKIP_2) | instid1(VALU_DEP_2)
	v_dual_mul_f32 v11, v11, v27 :: v_dual_fmac_f32 v46, v6, v29
	v_mul_f32_e32 v45, v5, v36
	v_dual_mul_f32 v52, v50, v40 :: v_dual_mul_f32 v5, v5, v35
	v_fmac_f32_e32 v45, v4, v35
	s_delay_alu instid0(VALU_DEP_2)
	v_fmac_f32_e32 v52, v49, v39
	v_fmac_f32_e32 v9, v10, v27
	v_fma_f32 v10, v10, v28, -v11
	v_mul_f32_e32 v28, v3, v32
	v_mul_f32_e32 v7, v7, v29
	v_fma_f32 v11, v51, v34, -v26
	v_fma_f32 v26, v4, v36, -v5
	s_delay_alu instid0(VALU_DEP_4) | instskip(NEXT) | instid1(VALU_DEP_4)
	v_dual_fmac_f32 v25, v51, v33 :: v_dual_fmac_f32 v28, v2, v31
	v_fma_f32 v4, v6, v30, -v7
	s_delay_alu instid0(VALU_DEP_4) | instskip(SKIP_1) | instid1(VALU_DEP_3)
	v_sub_f32_e32 v6, v8, v11
	v_mul_f32_e32 v5, v50, v39
	v_sub_f32_e32 v33, v70, v4
	v_mul_f32_e32 v3, v3, v31
	v_sub_f32_e32 v31, v69, v46
	v_fma_f32 v8, v8, 2.0, -v6
	v_fma_f32 v5, v49, v40, -v5
	v_fma_f32 v36, v70, 2.0, -v33
	v_fma_f32 v30, v2, v32, -v3
	v_sub_f32_e32 v3, v43, v25
	v_dual_mul_f32 v25, v48, v42 :: v_dual_sub_f32 v32, v45, v52
	v_sub_f32_e32 v7, v67, v9
	v_fma_f32 v34, v69, 2.0, -v31
	v_mul_f32_e32 v27, v1, v38
	v_mul_f32_e32 v1, v1, v37
	v_fmac_f32_e32 v25, v47, v41
	v_sub_f32_e32 v9, v68, v10
	v_dual_add_f32 v4, v7, v6 :: v_dual_sub_f32 v35, v26, v5
	s_delay_alu instid0(VALU_DEP_4) | instskip(SKIP_1) | instid1(VALU_DEP_4)
	v_fma_f32 v29, v0, v38, -v1
	v_mul_f32_e32 v1, v48, v41
	v_fma_f32 v10, v68, 2.0, -v9
	s_delay_alu instid0(VALU_DEP_4) | instskip(NEXT) | instid1(VALU_DEP_3)
	v_fma_f32 v26, v26, 2.0, -v35
	v_fma_f32 v11, v47, v42, -v1
	s_delay_alu instid0(VALU_DEP_3) | instskip(SKIP_1) | instid1(VALU_DEP_3)
	v_sub_f32_e32 v1, v10, v8
	v_fma_f32 v8, v45, 2.0, -v32
	v_sub_f32_e32 v38, v29, v11
	s_delay_alu instid0(VALU_DEP_2) | instskip(SKIP_2) | instid1(VALU_DEP_3)
	v_dual_sub_f32 v6, v34, v8 :: v_dual_fmac_f32 v27, v0, v37
	v_sub_f32_e32 v37, v24, v30
	v_fma_f32 v0, v43, 2.0, -v3
	v_dual_sub_f32 v30, v27, v25 :: v_dual_sub_f32 v5, v9, v3
	v_fma_f32 v3, v10, 2.0, -v1
	v_fma_f32 v10, v34, 2.0, -v6
	v_sub_f32_e32 v34, v23, v28
	v_fma_f32 v39, v24, 2.0, -v37
	v_fma_f32 v24, v27, 2.0, -v30
	v_sub_f32_e32 v30, v37, v30
	v_fma_f32 v2, v67, 2.0, -v7
	v_add_f32_e32 v25, v31, v35
	v_fma_f32 v35, v23, 2.0, -v34
	v_fma_f32 v28, v29, 2.0, -v38
	;; [unrolled: 1-line block ×3, first 2 shown]
	v_dual_sub_f32 v0, v2, v0 :: v_dual_sub_f32 v7, v36, v26
	v_sub_f32_e32 v26, v33, v32
	v_sub_f32_e32 v27, v35, v24
	v_dual_sub_f32 v28, v39, v28 :: v_dual_add_f32 v29, v34, v38
	s_delay_alu instid0(VALU_DEP_4)
	v_fma_f32 v2, v2, 2.0, -v0
	v_fma_f32 v9, v9, 2.0, -v5
	;; [unrolled: 1-line block ×9, first 2 shown]
	ds_store_2addr_b64 v83, v[2:3], v[8:9] offset1:13
	ds_store_2addr_b64 v83, v[0:1], v[4:5] offset0:26 offset1:39
	ds_store_2addr_b64 v82, v[10:11], v[23:24] offset1:13
	ds_store_2addr_b64 v82, v[6:7], v[25:26] offset0:26 offset1:39
	;; [unrolled: 2-line block ×3, first 2 shown]
	global_wb scope:SCOPE_SE
	s_wait_dscnt 0x0
	s_barrier_signal -1
	s_barrier_wait -1
	global_inv scope:SCOPE_SE
	ds_load_2addr_b64 v[0:3], v78 offset0:104 offset1:156
	ds_load_2addr_b64 v[4:7], v20 offset0:80 offset1:132
	ds_load_2addr_b64 v[8:11], v21 offset0:56 offset1:108
	ds_load_2addr_b64 v[23:26], v21 offset0:160 offset1:212
	ds_load_2addr_b64 v[27:30], v22 offset0:8 offset1:60
	ds_load_2addr_b64 v[31:34], v78 offset1:52
	global_wb scope:SCOPE_SE
	s_wait_dscnt 0x0
	s_barrier_signal -1
	s_barrier_wait -1
	global_inv scope:SCOPE_SE
	v_mul_f32_e32 v35, v17, v1
	v_mul_f32_e32 v36, v17, v0
	s_delay_alu instid0(VALU_DEP_2) | instskip(SKIP_1) | instid1(VALU_DEP_3)
	v_fmac_f32_e32 v35, v16, v0
	v_mul_f32_e32 v0, v19, v4
	v_fma_f32 v1, v16, v1, -v36
	v_mul_f32_e32 v36, v13, v9
	s_delay_alu instid0(VALU_DEP_3) | instskip(NEXT) | instid1(VALU_DEP_2)
	v_fma_f32 v0, v18, v5, -v0
	v_dual_mul_f32 v37, v19, v5 :: v_dual_fmac_f32 v36, v12, v8
	v_mul_f32_e32 v5, v15, v24
	s_delay_alu instid0(VALU_DEP_2) | instskip(SKIP_2) | instid1(VALU_DEP_4)
	v_fmac_f32_e32 v37, v18, v4
	v_mul_f32_e32 v4, v13, v8
	v_mul_f32_e32 v8, v15, v23
	v_fmac_f32_e32 v5, v14, v23
	s_delay_alu instid0(VALU_DEP_3) | instskip(SKIP_1) | instid1(VALU_DEP_4)
	v_fma_f32 v4, v12, v9, -v4
	v_mul_f32_e32 v9, v54, v28
	v_fma_f32 v8, v14, v24, -v8
	v_mul_f32_e32 v24, v17, v3
	s_delay_alu instid0(VALU_DEP_3) | instskip(SKIP_2) | instid1(VALU_DEP_4)
	v_fmac_f32_e32 v9, v53, v27
	v_mul_f32_e32 v23, v54, v27
	v_mul_f32_e32 v17, v17, v2
	v_dual_mul_f32 v27, v19, v7 :: v_dual_fmac_f32 v24, v16, v2
	v_mul_f32_e32 v2, v19, v6
	s_delay_alu instid0(VALU_DEP_3) | instskip(SKIP_1) | instid1(VALU_DEP_4)
	v_fma_f32 v16, v16, v3, -v17
	v_mul_f32_e32 v17, v13, v11
	v_fmac_f32_e32 v27, v18, v6
	v_mul_f32_e32 v3, v13, v10
	v_fma_f32 v13, v18, v7, -v2
	v_mul_f32_e32 v18, v15, v26
	v_dual_mul_f32 v2, v15, v25 :: v_dual_fmac_f32 v17, v12, v10
	s_delay_alu instid0(VALU_DEP_4) | instskip(NEXT) | instid1(VALU_DEP_3)
	v_fma_f32 v12, v12, v11, -v3
	v_fmac_f32_e32 v18, v14, v25
	s_delay_alu instid0(VALU_DEP_3) | instskip(SKIP_1) | instid1(VALU_DEP_1)
	v_fma_f32 v14, v14, v26, -v2
	v_add_f32_e32 v2, v37, v5
	v_fma_f32 v7, -0.5, v2, v31
	v_sub_f32_e32 v2, v0, v8
	s_delay_alu instid0(VALU_DEP_1) | instskip(SKIP_2) | instid1(VALU_DEP_1)
	v_fmamk_f32 v10, v2, 0xbf5db3d7, v7
	v_fmac_f32_e32 v7, 0x3f5db3d7, v2
	v_mul_f32_e32 v3, v54, v29
	v_fma_f32 v19, v53, v30, -v3
	v_add_f32_e32 v3, v0, v8
	v_add_f32_e32 v0, v32, v0
	s_delay_alu instid0(VALU_DEP_2) | instskip(NEXT) | instid1(VALU_DEP_2)
	v_fma_f32 v11, -0.5, v3, v32
	v_add_f32_e32 v25, v0, v8
	v_add_f32_e32 v0, v36, v9
	v_fma_f32 v23, v53, v28, -v23
	s_delay_alu instid0(VALU_DEP_1) | instskip(SKIP_1) | instid1(VALU_DEP_1)
	v_add_f32_e32 v2, v4, v23
	v_add_f32_e32 v6, v31, v37
	;; [unrolled: 1-line block ×3, first 2 shown]
	v_sub_f32_e32 v3, v37, v5
	v_add_f32_e32 v5, v1, v4
	v_dual_fmac_f32 v1, -0.5, v2 :: v_dual_sub_f32 v2, v36, v9
	s_delay_alu instid0(VALU_DEP_3) | instskip(SKIP_1) | instid1(VALU_DEP_3)
	v_fmamk_f32 v26, v3, 0x3f5db3d7, v11
	v_fmac_f32_e32 v11, 0xbf5db3d7, v3
	v_fmamk_f32 v3, v2, 0x3f5db3d7, v1
	v_fmac_f32_e32 v1, 0xbf5db3d7, v2
	s_delay_alu instid0(VALU_DEP_1) | instskip(SKIP_2) | instid1(VALU_DEP_2)
	v_mul_f32_e32 v28, 0xbf5db3d7, v1
	v_add_f32_e32 v8, v35, v36
	v_dual_fmac_f32 v35, -0.5, v0 :: v_dual_sub_f32 v0, v4, v23
	v_dual_add_f32 v23, v5, v23 :: v_dual_add_f32 v8, v8, v9
	s_delay_alu instid0(VALU_DEP_2) | instskip(SKIP_2) | instid1(VALU_DEP_3)
	v_dual_mul_f32 v9, 0xbf5db3d7, v3 :: v_dual_fmamk_f32 v2, v0, 0xbf5db3d7, v35
	v_fmac_f32_e32 v35, 0x3f5db3d7, v0
	v_dual_mul_f32 v15, v54, v30 :: v_dual_mul_f32 v30, -0.5, v1
	v_dual_add_f32 v0, v6, v8 :: v_dual_fmac_f32 v9, 0.5, v2
	s_delay_alu instid0(VALU_DEP_3) | instskip(SKIP_1) | instid1(VALU_DEP_4)
	v_fmac_f32_e32 v28, -0.5, v35
	v_sub_f32_e32 v6, v6, v8
	v_dual_fmac_f32 v30, 0x3f5db3d7, v35 :: v_dual_fmac_f32 v15, v53, v29
	s_delay_alu instid0(VALU_DEP_4) | instskip(NEXT) | instid1(VALU_DEP_1)
	v_dual_mul_f32 v29, 0.5, v3 :: v_dual_sub_f32 v8, v10, v9
	v_dual_add_f32 v4, v7, v28 :: v_dual_fmac_f32 v29, 0x3f5db3d7, v2
	v_add_f32_e32 v2, v10, v9
	s_delay_alu instid0(VALU_DEP_2) | instskip(SKIP_4) | instid1(VALU_DEP_1)
	v_dual_sub_f32 v10, v7, v28 :: v_dual_add_f32 v3, v26, v29
	v_dual_sub_f32 v9, v26, v29 :: v_dual_add_f32 v26, v13, v14
	v_add_f32_e32 v1, v25, v23
	v_sub_f32_e32 v7, v25, v23
	v_add_f32_e32 v23, v27, v18
	v_fma_f32 v28, -0.5, v23, v33
	v_sub_f32_e32 v23, v13, v14
	v_dual_add_f32 v13, v34, v13 :: v_dual_fmac_f32 v34, -0.5, v26
	s_delay_alu instid0(VALU_DEP_2) | instskip(SKIP_3) | instid1(VALU_DEP_2)
	v_fmamk_f32 v26, v23, 0xbf5db3d7, v28
	v_fmac_f32_e32 v28, 0x3f5db3d7, v23
	v_add_f32_e32 v25, v33, v27
	v_add_f32_e32 v23, v12, v19
	;; [unrolled: 1-line block ×3, first 2 shown]
	v_sub_f32_e32 v18, v27, v18
	v_add_f32_e32 v27, v13, v14
	v_dual_add_f32 v13, v17, v15 :: v_dual_add_f32 v14, v16, v12
	v_fmac_f32_e32 v16, -0.5, v23
	v_sub_f32_e32 v23, v17, v15
	v_fmamk_f32 v29, v18, 0x3f5db3d7, v34
	v_add_f32_e32 v17, v24, v17
	v_fmac_f32_e32 v24, -0.5, v13
	s_delay_alu instid0(VALU_DEP_4) | instskip(SKIP_2) | instid1(VALU_DEP_3)
	v_dual_sub_f32 v12, v12, v19 :: v_dual_fmamk_f32 v13, v23, 0x3f5db3d7, v16
	v_fmac_f32_e32 v34, 0xbf5db3d7, v18
	v_fmac_f32_e32 v16, 0xbf5db3d7, v23
	v_dual_add_f32 v18, v17, v15 :: v_dual_fmamk_f32 v15, v12, 0xbf5db3d7, v24
	s_delay_alu instid0(VALU_DEP_4) | instskip(SKIP_1) | instid1(VALU_DEP_4)
	v_mul_f32_e32 v23, 0xbf5db3d7, v13
	v_mul_f32_e32 v31, 0.5, v13
	v_dual_add_f32 v5, v11, v30 :: v_dual_mul_f32 v32, -0.5, v16
	s_delay_alu instid0(VALU_DEP_3) | instskip(SKIP_2) | instid1(VALU_DEP_3)
	v_dual_fmac_f32 v24, 0x3f5db3d7, v12 :: v_dual_fmac_f32 v23, 0.5, v15
	v_dual_sub_f32 v11, v11, v30 :: v_dual_mul_f32 v30, 0xbf5db3d7, v16
	v_add_f32_e32 v19, v14, v19
	v_dual_fmac_f32 v31, 0x3f5db3d7, v15 :: v_dual_fmac_f32 v32, 0x3f5db3d7, v24
	v_add_f32_e32 v12, v25, v18
	s_delay_alu instid0(VALU_DEP_4) | instskip(SKIP_3) | instid1(VALU_DEP_4)
	v_fmac_f32_e32 v30, -0.5, v24
	v_add_f32_e32 v14, v26, v23
	v_add_f32_e32 v13, v27, v19
	;; [unrolled: 1-line block ×3, first 2 shown]
	v_dual_add_f32 v17, v34, v32 :: v_dual_add_f32 v16, v28, v30
	v_dual_sub_f32 v18, v25, v18 :: v_dual_sub_f32 v19, v27, v19
	v_sub_f32_e32 v23, v26, v23
	v_dual_sub_f32 v25, v28, v30 :: v_dual_sub_f32 v24, v29, v31
	v_sub_f32_e32 v26, v34, v32
	ds_store_2addr_b64 v78, v[0:1], v[2:3] offset1:52
	ds_store_2addr_b64 v78, v[4:5], v[6:7] offset0:104 offset1:156
	ds_store_2addr_b64 v20, v[8:9], v[10:11] offset0:80 offset1:132
	;; [unrolled: 1-line block ×5, first 2 shown]
	global_wb scope:SCOPE_SE
	s_wait_dscnt 0x0
	s_barrier_signal -1
	s_barrier_wait -1
	global_inv scope:SCOPE_SE
	ds_load_2addr_b64 v[0:3], v21 offset0:56 offset1:108
	ds_load_2addr_b64 v[4:7], v21 offset0:160 offset1:212
	;; [unrolled: 1-line block ×3, first 2 shown]
	ds_load_2addr_b64 v[12:15], v78 offset1:52
	ds_load_2addr_b64 v[16:19], v78 offset0:104 offset1:156
	ds_load_2addr_b64 v[23:26], v20 offset0:80 offset1:132
	s_wait_dscnt 0x5
	v_mul_f32_e32 v27, v62, v1
	v_mul_f32_e32 v28, v62, v0
	;; [unrolled: 1-line block ×3, first 2 shown]
	s_wait_dscnt 0x4
	v_dual_mul_f32 v30, v66, v2 :: v_dual_mul_f32 v31, v64, v7
	v_fmac_f32_e32 v27, v61, v0
	v_fma_f32 v1, v61, v1, -v28
	v_dual_fmac_f32 v29, v65, v2 :: v_dual_mul_f32 v28, v58, v5
	v_mul_f32_e32 v0, v58, v4
	v_mul_f32_e32 v2, v64, v6
	v_fma_f32 v30, v65, v3, -v30
	s_wait_dscnt 0x3
	v_mul_f32_e32 v32, v56, v9
	v_fmac_f32_e32 v28, v57, v4
	v_fma_f32 v33, v57, v5, -v0
	v_fma_f32 v34, v63, v7, -v2
	v_mul_f32_e32 v2, v56, v8
	v_mul_f32_e32 v35, v60, v11
	;; [unrolled: 1-line block ×3, first 2 shown]
	v_fmac_f32_e32 v31, v63, v6
	v_fmac_f32_e32 v32, v55, v8
	s_wait_dscnt 0x2
	v_sub_f32_e32 v0, v12, v27
	v_fma_f32 v27, v55, v9, -v2
	v_sub_f32_e32 v1, v13, v1
	s_wait_dscnt 0x1
	v_dual_fmac_f32 v35, v59, v10 :: v_dual_sub_f32 v10, v18, v31
	v_fma_f32 v36, v59, v11, -v3
	v_dual_sub_f32 v6, v16, v28 :: v_dual_sub_f32 v7, v17, v33
	v_dual_sub_f32 v4, v14, v29 :: v_dual_sub_f32 v5, v15, v30
	v_sub_f32_e32 v11, v19, v34
	v_fma_f32 v2, v12, 2.0, -v0
	v_fma_f32 v3, v13, 2.0, -v1
	;; [unrolled: 1-line block ×4, first 2 shown]
	s_wait_dscnt 0x0
	v_dual_sub_f32 v16, v23, v32 :: v_dual_sub_f32 v17, v24, v27
	v_dual_sub_f32 v27, v25, v35 :: v_dual_sub_f32 v28, v26, v36
	v_fma_f32 v8, v14, 2.0, -v4
	v_fma_f32 v9, v15, 2.0, -v5
	;; [unrolled: 1-line block ×8, first 2 shown]
	ds_store_2addr_b64 v78, v[2:3], v[8:9] offset1:52
	ds_store_2addr_b64 v21, v[0:1], v[4:5] offset0:56 offset1:108
	ds_store_2addr_b64 v78, v[12:13], v[14:15] offset0:104 offset1:156
	;; [unrolled: 1-line block ×5, first 2 shown]
	global_wb scope:SCOPE_SE
	s_wait_dscnt 0x0
	s_barrier_signal -1
	s_barrier_wait -1
	global_inv scope:SCOPE_SE
	s_and_b32 exec_lo, exec_lo, vcc_lo
	s_cbranch_execz .LBB0_15
; %bb.14:
	s_clause 0xc
	global_load_b64 v[24:25], v77, s[14:15]
	global_load_b64 v[26:27], v77, s[14:15] offset:384
	global_load_b64 v[28:29], v77, s[14:15] offset:768
	;; [unrolled: 1-line block ×12, first 2 shown]
	v_mad_co_u64_u32 v[20:21], null, s6, v44, 0
	v_mad_co_u64_u32 v[53:54], null, s4, v76, 0
	v_add_nc_u32_e32 v12, 0x400, v80
	ds_load_b64 v[51:52], v78
	ds_load_2addr_b64 v[0:3], v80 offset0:48 offset1:96
	ds_load_2addr_b64 v[4:7], v80 offset0:144 offset1:192
	v_mov_b32_e32 v8, v21
	v_mad_co_u64_u32 v[55:56], null, s4, v75, 0
	v_mov_b32_e32 v9, v54
	v_mad_co_u64_u32 v[57:58], null, s4, v74, 0
	v_mad_co_u64_u32 v[59:60], null, s4, v73, 0
	s_delay_alu instid0(VALU_DEP_3)
	v_mad_co_u64_u32 v[10:11], null, s7, v44, v[8:9]
	v_add_nc_u32_e32 v16, 0x800, v80
	v_mov_b32_e32 v44, v56
	v_mov_b32_e32 v56, v58
	s_mov_b32 s2, 0x1a41a41a
	v_mov_b32_e32 v58, v60
	s_mov_b32 s3, 0x3f5a41a4
	v_mad_co_u64_u32 v[22:23], null, s5, v76, v[9:10]
	v_add_nc_u32_e32 v23, 0x1000, v80
	v_mov_b32_e32 v21, v10
	ds_load_2addr_b64 v[8:11], v12 offset0:112 offset1:160
	ds_load_2addr_b64 v[12:15], v16 offset0:80 offset1:128
	;; [unrolled: 1-line block ×3, first 2 shown]
	s_mul_u64 s[0:1], s[4:5], 0x180
	s_mul_i32 s6, s5, 0x300
	v_mov_b32_e32 v54, v22
	v_lshlrev_b64_e32 v[61:62], 3, v[20:21]
	ds_load_2addr_b64 v[20:23], v23 offset0:16 offset1:64
	v_add_co_u32 v76, vcc_lo, s12, v61
	v_add_co_ci_u32_e32 v77, vcc_lo, s13, v62, vcc_lo
	s_wait_loadcnt_dscnt 0xb05
	v_mul_f32_e32 v63, v1, v27
	s_wait_loadcnt 0xa
	v_dual_mul_f32 v27, v0, v27 :: v_dual_mul_f32 v64, v3, v29
	v_mul_f32_e32 v29, v2, v29
	s_wait_loadcnt_dscnt 0x703
	v_dual_mul_f32 v66, v7, v33 :: v_dual_mul_f32 v67, v9, v35
	v_mul_f32_e32 v33, v6, v33
	s_wait_loadcnt 0x6
	v_dual_mul_f32 v35, v8, v35 :: v_dual_mul_f32 v68, v11, v37
	s_wait_loadcnt 0x2
	v_mad_co_u64_u32 v[60:61], null, s5, v75, v[44:45]
	v_dual_mul_f32 v44, v52, v25 :: v_dual_mul_f32 v65, v5, v31
	v_mul_f32_e32 v25, v51, v25
	v_mul_f32_e32 v31, v4, v31
	s_wait_dscnt 0x1
	v_mul_f32_e32 v71, v17, v43
	v_dual_mul_f32 v43, v16, v43 :: v_dual_fmac_f32 v44, v51, v24
	v_fma_f32 v24, v24, v52, -v25
	v_mul_f32_e32 v37, v10, v37
	v_dual_fmac_f32 v63, v0, v26 :: v_dual_fmac_f32 v64, v2, v28
	v_fma_f32 v25, v26, v1, -v27
	v_dual_mul_f32 v69, v13, v39 :: v_dual_mul_f32 v70, v15, v41
	v_mul_f32_e32 v39, v12, v39
	v_fma_f32 v26, v28, v3, -v29
	s_wait_loadcnt_dscnt 0x0
	v_dual_mul_f32 v41, v14, v41 :: v_dual_mul_f32 v78, v23, v50
	v_dual_fmac_f32 v65, v4, v30 :: v_dual_fmac_f32 v66, v6, v32
	v_fma_f32 v27, v30, v5, -v31
	v_mul_f32_e32 v72, v19, v46
	v_mul_f32_e32 v46, v18, v46
	v_fma_f32 v28, v32, v7, -v33
	v_mul_f32_e32 v75, v21, v48
	v_mul_f32_e32 v48, v20, v48
	v_fmac_f32_e32 v72, v18, v45
	v_mul_f32_e32 v50, v22, v50
	v_dual_fmac_f32 v67, v8, v34 :: v_dual_fmac_f32 v68, v10, v36
	v_fma_f32 v29, v34, v9, -v35
	v_cvt_f64_f32_e32 v[0:1], v44
	v_cvt_f64_f32_e32 v[2:3], v24
	v_fma_f32 v30, v36, v11, -v37
	v_cvt_f64_f32_e32 v[4:5], v63
	v_cvt_f64_f32_e32 v[6:7], v25
	v_dual_fmac_f32 v69, v12, v38 :: v_dual_fmac_f32 v70, v14, v40
	v_fma_f32 v31, v38, v13, -v39
	v_cvt_f64_f32_e32 v[8:9], v64
	v_cvt_f64_f32_e32 v[10:11], v26
	v_fma_f32 v34, v40, v15, -v41
	v_dual_fmac_f32 v71, v16, v42 :: v_dual_fmac_f32 v78, v22, v49
	v_fma_f32 v38, v42, v17, -v43
	v_cvt_f64_f32_e32 v[12:13], v65
	v_cvt_f64_f32_e32 v[14:15], v27
	;; [unrolled: 1-line block ×3, first 2 shown]
	v_mad_co_u64_u32 v[65:66], null, s5, v74, v[56:57]
	v_fma_f32 v42, v45, v19, -v46
	v_cvt_f64_f32_e32 v[18:19], v28
	v_fmac_f32_e32 v75, v20, v47
	v_fma_f32 v46, v47, v21, -v48
	v_fma_f32 v50, v49, v23, -v50
	v_cvt_f64_f32_e32 v[20:21], v67
	v_cvt_f64_f32_e32 v[22:23], v29
	;; [unrolled: 1-line block ×13, first 2 shown]
	v_mad_co_u64_u32 v[68:69], null, s5, v73, v[58:59]
	v_mov_b32_e32 v58, v65
	v_cvt_f64_f32_e32 v[44:45], v75
	v_cvt_f64_f32_e32 v[48:49], v78
	;; [unrolled: 1-line block ×3, first 2 shown]
	v_lshlrev_b64_e32 v[53:54], 3, v[53:54]
	s_wait_alu 0xfffe
	v_mul_f64_e32 v[0:1], s[2:3], v[0:1]
	v_mul_f64_e32 v[2:3], s[2:3], v[2:3]
	v_mul_f64_e32 v[4:5], s[2:3], v[4:5]
	v_mul_f64_e32 v[6:7], s[2:3], v[6:7]
	v_mul_f64_e32 v[8:9], s[2:3], v[8:9]
	v_mul_f64_e32 v[10:11], s[2:3], v[10:11]
	v_add_co_u32 v53, vcc_lo, v76, v53
	v_mul_f64_e32 v[12:13], s[2:3], v[12:13]
	v_mul_f64_e32 v[14:15], s[2:3], v[14:15]
	;; [unrolled: 1-line block ×3, first 2 shown]
	s_wait_alu 0xfffd
	v_add_co_ci_u32_e32 v54, vcc_lo, v77, v54, vcc_lo
	v_add_co_u32 v61, vcc_lo, v53, s0
	v_mul_f64_e32 v[18:19], s[2:3], v[18:19]
	s_wait_alu 0xfffd
	s_delay_alu instid0(VALU_DEP_3)
	v_add_co_ci_u32_e32 v62, vcc_lo, s1, v54, vcc_lo
	v_mul_f64_e32 v[20:21], s[2:3], v[20:21]
	v_mul_f64_e32 v[22:23], s[2:3], v[22:23]
	;; [unrolled: 1-line block ×13, first 2 shown]
	v_add_co_u32 v63, vcc_lo, v61, s0
	s_wait_alu 0xfffd
	v_add_co_ci_u32_e32 v64, vcc_lo, s1, v62, vcc_lo
	v_mul_f64_e32 v[44:45], s[2:3], v[44:45]
	v_mul_f64_e32 v[48:49], s[2:3], v[48:49]
	;; [unrolled: 1-line block ×3, first 2 shown]
	v_add_co_u32 v66, vcc_lo, v63, s0
	s_wait_alu 0xfffd
	v_add_co_ci_u32_e32 v67, vcc_lo, s1, v64, vcc_lo
	v_cvt_f32_f64_e32 v0, v[0:1]
	v_cvt_f32_f64_e32 v1, v[2:3]
	;; [unrolled: 1-line block ×3, first 2 shown]
	s_delay_alu instid0(VALU_DEP_4)
	v_mad_co_u64_u32 v[69:70], null, 0x300, s4, v[66:67]
	v_cvt_f32_f64_e32 v3, v[6:7]
	v_cvt_f32_f64_e32 v4, v[8:9]
	v_cvt_f32_f64_e32 v5, v[10:11]
	v_cvt_f32_f64_e32 v6, v[12:13]
	v_cvt_f32_f64_e32 v7, v[14:15]
	v_cvt_f32_f64_e32 v8, v[16:17]
	v_add_nc_u32_e32 v70, s6, v70
	v_add_co_u32 v71, vcc_lo, v69, s0
	v_cvt_f32_f64_e32 v9, v[18:19]
	v_cvt_f32_f64_e32 v10, v[20:21]
	s_wait_alu 0xfffd
	v_add_co_ci_u32_e32 v72, vcc_lo, s1, v70, vcc_lo
	v_add_co_u32 v73, vcc_lo, v71, s0
	v_cvt_f32_f64_e32 v11, v[22:23]
	s_wait_alu 0xfffd
	s_delay_alu instid0(VALU_DEP_3)
	v_add_co_ci_u32_e32 v74, vcc_lo, s1, v72, vcc_lo
	v_cvt_f32_f64_e32 v12, v[24:25]
	v_cvt_f32_f64_e32 v13, v[26:27]
	;; [unrolled: 1-line block ×10, first 2 shown]
	v_mad_co_u64_u32 v[26:27], null, 0x300, s4, v[73:74]
	v_cvt_f32_f64_e32 v22, v[44:45]
	v_cvt_f32_f64_e32 v23, v[46:47]
	;; [unrolled: 1-line block ×4, first 2 shown]
	v_mov_b32_e32 v56, v60
	v_lshlrev_b64_e32 v[28:29], 3, v[57:58]
	v_dual_mov_b32 v60, v68 :: v_dual_add_nc_u32 v27, s6, v27
	s_delay_alu instid0(VALU_DEP_3) | instskip(NEXT) | instid1(VALU_DEP_2)
	v_lshlrev_b64_e32 v[55:56], 3, v[55:56]
	v_lshlrev_b64_e32 v[30:31], 3, v[59:60]
	s_delay_alu instid0(VALU_DEP_2) | instskip(SKIP_1) | instid1(VALU_DEP_3)
	v_add_co_u32 v32, vcc_lo, v76, v55
	s_wait_alu 0xfffd
	v_add_co_ci_u32_e32 v33, vcc_lo, v77, v56, vcc_lo
	v_add_co_u32 v28, vcc_lo, v76, v28
	s_wait_alu 0xfffd
	v_add_co_ci_u32_e32 v29, vcc_lo, v77, v29, vcc_lo
	v_add_co_u32 v34, vcc_lo, v26, s0
	s_wait_alu 0xfffd
	v_add_co_ci_u32_e32 v35, vcc_lo, s1, v27, vcc_lo
	v_add_co_u32 v30, vcc_lo, v76, v30
	s_wait_alu 0xfffd
	v_add_co_ci_u32_e32 v31, vcc_lo, v77, v31, vcc_lo
	v_add_co_u32 v36, vcc_lo, v34, s0
	s_wait_alu 0xfffd
	v_add_co_ci_u32_e32 v37, vcc_lo, s1, v35, vcc_lo
	s_clause 0x5
	global_store_b64 v[53:54], v[0:1], off
	global_store_b64 v[61:62], v[2:3], off
	;; [unrolled: 1-line block ×13, first 2 shown]
.LBB0_15:
	s_nop 0
	s_sendmsg sendmsg(MSG_DEALLOC_VGPRS)
	s_endpgm
	.section	.rodata,"a",@progbits
	.p2align	6, 0x0
	.amdhsa_kernel bluestein_single_fwd_len624_dim1_sp_op_CI_CI
		.amdhsa_group_segment_fixed_size 4992
		.amdhsa_private_segment_fixed_size 0
		.amdhsa_kernarg_size 104
		.amdhsa_user_sgpr_count 2
		.amdhsa_user_sgpr_dispatch_ptr 0
		.amdhsa_user_sgpr_queue_ptr 0
		.amdhsa_user_sgpr_kernarg_segment_ptr 1
		.amdhsa_user_sgpr_dispatch_id 0
		.amdhsa_user_sgpr_private_segment_size 0
		.amdhsa_wavefront_size32 1
		.amdhsa_uses_dynamic_stack 0
		.amdhsa_enable_private_segment 0
		.amdhsa_system_sgpr_workgroup_id_x 1
		.amdhsa_system_sgpr_workgroup_id_y 0
		.amdhsa_system_sgpr_workgroup_id_z 0
		.amdhsa_system_sgpr_workgroup_info 0
		.amdhsa_system_vgpr_workitem_id 0
		.amdhsa_next_free_vgpr 159
		.amdhsa_next_free_sgpr 16
		.amdhsa_reserve_vcc 1
		.amdhsa_float_round_mode_32 0
		.amdhsa_float_round_mode_16_64 0
		.amdhsa_float_denorm_mode_32 3
		.amdhsa_float_denorm_mode_16_64 3
		.amdhsa_fp16_overflow 0
		.amdhsa_workgroup_processor_mode 1
		.amdhsa_memory_ordered 1
		.amdhsa_forward_progress 0
		.amdhsa_round_robin_scheduling 0
		.amdhsa_exception_fp_ieee_invalid_op 0
		.amdhsa_exception_fp_denorm_src 0
		.amdhsa_exception_fp_ieee_div_zero 0
		.amdhsa_exception_fp_ieee_overflow 0
		.amdhsa_exception_fp_ieee_underflow 0
		.amdhsa_exception_fp_ieee_inexact 0
		.amdhsa_exception_int_div_zero 0
	.end_amdhsa_kernel
	.text
.Lfunc_end0:
	.size	bluestein_single_fwd_len624_dim1_sp_op_CI_CI, .Lfunc_end0-bluestein_single_fwd_len624_dim1_sp_op_CI_CI
                                        ; -- End function
	.section	.AMDGPU.csdata,"",@progbits
; Kernel info:
; codeLenInByte = 14564
; NumSgprs: 18
; NumVgprs: 159
; ScratchSize: 0
; MemoryBound: 0
; FloatMode: 240
; IeeeMode: 1
; LDSByteSize: 4992 bytes/workgroup (compile time only)
; SGPRBlocks: 2
; VGPRBlocks: 19
; NumSGPRsForWavesPerEU: 18
; NumVGPRsForWavesPerEU: 159
; Occupancy: 9
; WaveLimiterHint : 1
; COMPUTE_PGM_RSRC2:SCRATCH_EN: 0
; COMPUTE_PGM_RSRC2:USER_SGPR: 2
; COMPUTE_PGM_RSRC2:TRAP_HANDLER: 0
; COMPUTE_PGM_RSRC2:TGID_X_EN: 1
; COMPUTE_PGM_RSRC2:TGID_Y_EN: 0
; COMPUTE_PGM_RSRC2:TGID_Z_EN: 0
; COMPUTE_PGM_RSRC2:TIDIG_COMP_CNT: 0
	.text
	.p2alignl 7, 3214868480
	.fill 96, 4, 3214868480
	.type	__hip_cuid_9c15b50245ab730d,@object ; @__hip_cuid_9c15b50245ab730d
	.section	.bss,"aw",@nobits
	.globl	__hip_cuid_9c15b50245ab730d
__hip_cuid_9c15b50245ab730d:
	.byte	0                               ; 0x0
	.size	__hip_cuid_9c15b50245ab730d, 1

	.ident	"AMD clang version 19.0.0git (https://github.com/RadeonOpenCompute/llvm-project roc-6.4.0 25133 c7fe45cf4b819c5991fe208aaa96edf142730f1d)"
	.section	".note.GNU-stack","",@progbits
	.addrsig
	.addrsig_sym __hip_cuid_9c15b50245ab730d
	.amdgpu_metadata
---
amdhsa.kernels:
  - .args:
      - .actual_access:  read_only
        .address_space:  global
        .offset:         0
        .size:           8
        .value_kind:     global_buffer
      - .actual_access:  read_only
        .address_space:  global
        .offset:         8
        .size:           8
        .value_kind:     global_buffer
      - .actual_access:  read_only
        .address_space:  global
        .offset:         16
        .size:           8
        .value_kind:     global_buffer
      - .actual_access:  read_only
        .address_space:  global
        .offset:         24
        .size:           8
        .value_kind:     global_buffer
      - .actual_access:  read_only
        .address_space:  global
        .offset:         32
        .size:           8
        .value_kind:     global_buffer
      - .offset:         40
        .size:           8
        .value_kind:     by_value
      - .address_space:  global
        .offset:         48
        .size:           8
        .value_kind:     global_buffer
      - .address_space:  global
        .offset:         56
        .size:           8
        .value_kind:     global_buffer
      - .address_space:  global
        .offset:         64
        .size:           8
        .value_kind:     global_buffer
      - .address_space:  global
        .offset:         72
        .size:           8
        .value_kind:     global_buffer
      - .offset:         80
        .size:           4
        .value_kind:     by_value
      - .address_space:  global
        .offset:         88
        .size:           8
        .value_kind:     global_buffer
      - .address_space:  global
        .offset:         96
        .size:           8
        .value_kind:     global_buffer
    .group_segment_fixed_size: 4992
    .kernarg_segment_align: 8
    .kernarg_segment_size: 104
    .language:       OpenCL C
    .language_version:
      - 2
      - 0
    .max_flat_workgroup_size: 52
    .name:           bluestein_single_fwd_len624_dim1_sp_op_CI_CI
    .private_segment_fixed_size: 0
    .sgpr_count:     18
    .sgpr_spill_count: 0
    .symbol:         bluestein_single_fwd_len624_dim1_sp_op_CI_CI.kd
    .uniform_work_group_size: 1
    .uses_dynamic_stack: false
    .vgpr_count:     159
    .vgpr_spill_count: 0
    .wavefront_size: 32
    .workgroup_processor_mode: 1
amdhsa.target:   amdgcn-amd-amdhsa--gfx1201
amdhsa.version:
  - 1
  - 2
...

	.end_amdgpu_metadata
